;; amdgpu-corpus repo=pytorch/pytorch kind=compiled arch=gfx1100 opt=O3
	.text
	.amdgcn_target "amdgcn-amd-amdhsa--gfx1100"
	.amdhsa_code_object_version 6
	.section	.text._ZN2at6native13vol2im_kernelIddEEvlPKT_jjjjjjjjjjjjjjjjjjjPS2_,"axG",@progbits,_ZN2at6native13vol2im_kernelIddEEvlPKT_jjjjjjjjjjjjjjjjjjjPS2_,comdat
	.protected	_ZN2at6native13vol2im_kernelIddEEvlPKT_jjjjjjjjjjjjjjjjjjjPS2_ ; -- Begin function _ZN2at6native13vol2im_kernelIddEEvlPKT_jjjjjjjjjjjjjjjjjjjPS2_
	.globl	_ZN2at6native13vol2im_kernelIddEEvlPKT_jjjjjjjjjjjjjjjjjjjPS2_
	.p2align	8
	.type	_ZN2at6native13vol2im_kernelIddEEvlPKT_jjjjjjjjjjjjjjjjjjjPS2_,@function
_ZN2at6native13vol2im_kernelIddEEvlPKT_jjjjjjjjjjjjjjjjjjjPS2_: ; @_ZN2at6native13vol2im_kernelIddEEvlPKT_jjjjjjjjjjjjjjjjjjjPS2_
; %bb.0:
	s_clause 0x1
	s_load_b32 s4, s[0:1], 0x74
	s_load_b128 s[24:27], s[0:1], 0x0
	v_mov_b32_e32 v2, 0
	s_add_u32 s2, s0, 0x68
	s_addc_u32 s3, s1, 0
	s_mov_b32 s5, exec_lo
	s_delay_alu instid0(VALU_DEP_1)
	v_mov_b32_e32 v1, v2
	s_waitcnt lgkmcnt(0)
	s_and_b32 s4, s4, 0xffff
	s_delay_alu instid0(VALU_DEP_1) | instid1(SALU_CYCLE_1)
	v_mad_u64_u32 v[4:5], null, s4, s15, v[0:1]
	s_delay_alu instid0(VALU_DEP_1)
	v_cmpx_gt_i64_e64 s[24:25], v[4:5]
	s_cbranch_execz .LBB0_27
; %bb.1:
	s_clause 0x3
	s_load_b128 s[28:31], s[0:1], 0x10
	s_load_b256 s[8:15], s[0:1], 0x20
	s_load_b256 s[16:23], s[0:1], 0x40
	s_load_b64 s[6:7], s[0:1], 0x60
	s_load_b32 s0, s[2:3], 0x0
	s_waitcnt lgkmcnt(0)
	s_mov_b32 s23, 0
	v_cvt_f32_u32_e32 v0, s30
	v_cvt_f32_u32_e32 v1, s29
	s_mul_i32 s1, s29, s30
	s_add_i32 s3, s9, -1
	s_mov_b32 s5, s9
	v_rcp_iflag_f32_e32 v0, v0
	v_rcp_iflag_f32_e32 v1, v1
	s_mul_i32 s9, s1, s28
	s_sub_i32 s34, 0, s30
	v_cvt_f32_u32_e32 v12, s9
	s_sub_i32 s35, 0, s29
	v_cvt_f32_u32_e32 v3, s28
	v_cvt_f32_u32_e32 v6, s16
	;; [unrolled: 1-line block ×4, first 2 shown]
	s_waitcnt_depctr 0xfff
	v_dual_mul_f32 v0, 0x4f7ffffe, v0 :: v_dual_mul_f32 v1, 0x4f7ffffe, v1
	v_rcp_iflag_f32_e32 v12, v12
	v_cvt_f32_u32_e32 v9, s17
	v_rcp_iflag_f32_e32 v3, v3
	s_delay_alu instid0(VALU_DEP_2)
	v_cvt_u32_f32_e32 v0, v0
	v_cvt_u32_f32_e32 v1, v1
	v_rcp_iflag_f32_e32 v6, v6
	v_cvt_f32_u32_e32 v10, s18
	v_cvt_f32_u32_e32 v11, s19
	v_mul_lo_u32 v13, s34, v0
	v_mul_lo_u32 v14, s35, v1
	v_rcp_iflag_f32_e32 v8, v8
	v_rcp_iflag_f32_e32 v7, v7
	;; [unrolled: 1-line block ×5, first 2 shown]
	v_mul_f32_e32 v12, 0x4f7ffffe, v12
	v_mul_hi_u32 v13, v0, v13
	v_mul_hi_u32 v14, v1, v14
	v_dual_mul_f32 v3, 0x4f7ffffe, v3 :: v_dual_mul_f32 v6, 0x4f7ffffe, v6
	s_add_i32 s2, s10, -1
	v_mul_f32_e32 v7, 0x4f7ffffe, v7
	v_cvt_u32_f32_e32 v12, v12
	s_add_i32 s31, s8, -1
	s_delay_alu instid0(TRANS32_DEP_1)
	v_dual_mul_f32 v11, 0x4f7ffffe, v11 :: v_dual_add_nc_u32 v20, v0, v13
	v_dual_mul_f32 v0, 0x4f7ffffe, v8 :: v_dual_add_nc_u32 v21, v1, v14
	s_mul_i32 s1, s2, s19
	v_dual_mul_f32 v9, 0x4f7ffffe, v9 :: v_dual_mul_f32 v10, 0x4f7ffffe, v10
	v_cvt_u32_f32_e32 v6, v6
	s_mul_i32 s36, s31, s17
	s_add_i32 s31, s1, 1
	s_sub_i32 s1, 0, s9
	v_cvt_u32_f32_e32 v0, v0
	v_mul_lo_u32 v16, s1, v12
	s_sub_i32 s1, 0, s16
	v_cvt_u32_f32_e32 v7, v7
	v_cvt_u32_f32_e32 v9, v9
	v_mul_lo_u32 v1, s1, v6
	s_sub_i32 s1, 0, s14
	v_cvt_u32_f32_e32 v3, v3
	v_cvt_u32_f32_e32 v10, v10
	;; [unrolled: 1-line block ×3, first 2 shown]
	s_sub_i32 s2, 0, s15
	v_mul_lo_u32 v13, s1, v0
	s_sub_i32 s1, 0, s17
	s_sub_i32 s37, 0, s28
	v_mul_lo_u32 v8, s2, v7
	v_mul_lo_u32 v14, s1, v9
	s_sub_i32 s1, 0, s18
	s_sub_i32 s2, 0, s19
	v_mul_lo_u32 v15, s37, v3
	v_mul_lo_u32 v17, s1, v10
	;; [unrolled: 1-line block ×3, first 2 shown]
	v_mul_hi_u32 v16, v12, v16
	v_mul_hi_u32 v1, v6, v1
	;; [unrolled: 1-line block ×8, first 2 shown]
	v_add_nc_u32_e32 v23, v12, v16
	v_add_nc_u32_e32 v24, v6, v1
	;; [unrolled: 1-line block ×8, first 2 shown]
	s_mul_i32 s33, s3, s18
	s_add_i32 s36, s36, 1
	s_add_i32 s33, s33, 1
	s_mov_b32 s37, s21
	s_mul_i32 s38, s0, s4
	s_lshl_b64 s[34:35], s[22:23], 3
	s_branch .LBB0_4
.LBB0_2:                                ;   in Loop: Header=BB0_4 Depth=1
	s_or_b32 exec_lo, exec_lo, s40
.LBB0_3:                                ;   in Loop: Header=BB0_4 Depth=1
	s_delay_alu instid0(SALU_CYCLE_1) | instskip(SKIP_3) | instid1(VALU_DEP_3)
	s_or_b32 exec_lo, exec_lo, s39
	v_mov_b32_e32 v3, v4
	v_add_co_u32 v4, vcc_lo, v4, s38
	v_add_co_ci_u32_e32 v5, vcc_lo, 0, v5, vcc_lo
	v_ashrrev_i64 v[0:1], 29, v[2:3]
	s_delay_alu instid0(VALU_DEP_2) | instskip(NEXT) | instid1(VALU_DEP_2)
	v_cmp_le_i64_e32 vcc_lo, s[24:25], v[4:5]
	v_add_co_u32 v0, s0, s6, v0
	s_delay_alu instid0(VALU_DEP_1)
	v_add_co_ci_u32_e64 v1, s0, s7, v1, s0
	s_or_b32 s23, vcc_lo, s23
	global_store_b64 v[0:1], v[10:11], off
	s_and_not1_b32 exec_lo, exec_lo, s23
	s_cbranch_execz .LBB0_27
.LBB0_4:                                ; =>This Loop Header: Depth=1
                                        ;     Child Loop BB0_14 Depth 2
                                        ;       Child Loop BB0_18 Depth 3
                                        ;         Child Loop BB0_23 Depth 4
	v_mul_hi_u32 v0, v4, v20
	s_mov_b32 s0, exec_lo
	s_delay_alu instid0(VALU_DEP_1) | instskip(SKIP_1) | instid1(VALU_DEP_2)
	v_mul_lo_u32 v1, v0, s30
	v_add_nc_u32_e32 v3, 1, v0
	v_sub_nc_u32_e32 v1, v4, v1
	s_delay_alu instid0(VALU_DEP_1) | instskip(SKIP_1) | instid1(VALU_DEP_2)
	v_subrev_nc_u32_e32 v6, s30, v1
	v_cmp_le_u32_e32 vcc_lo, s30, v1
	v_dual_cndmask_b32 v0, v0, v3 :: v_dual_cndmask_b32 v1, v1, v6
	s_delay_alu instid0(VALU_DEP_1) | instskip(NEXT) | instid1(VALU_DEP_2)
	v_dual_mov_b32 v6, 0 :: v_dual_add_nc_u32 v3, 1, v0
	v_cmp_le_u32_e32 vcc_lo, s30, v1
	s_delay_alu instid0(VALU_DEP_2) | instskip(NEXT) | instid1(VALU_DEP_1)
	v_cndmask_b32_e32 v1, v0, v3, vcc_lo
	v_mul_lo_u32 v14, v1, s30
	s_delay_alu instid0(VALU_DEP_1) | instskip(NEXT) | instid1(VALU_DEP_1)
	v_sub_nc_u32_e32 v0, v4, v14
	v_add_nc_u32_e32 v12, s13, v0
	v_mov_b32_e32 v0, 0
	s_delay_alu instid0(VALU_DEP_2)
	v_cmpx_le_u32_e64 s31, v12
	s_cbranch_execz .LBB0_6
; %bb.5:                                ;   in Loop: Header=BB0_4 Depth=1
	v_subrev_nc_u32_e32 v3, s31, v12
	s_delay_alu instid0(VALU_DEP_1) | instskip(NEXT) | instid1(VALU_DEP_1)
	v_mul_hi_u32 v6, v3, v24
	v_mul_lo_u32 v7, v6, s16
	s_delay_alu instid0(VALU_DEP_1) | instskip(SKIP_1) | instid1(VALU_DEP_2)
	v_sub_nc_u32_e32 v3, v3, v7
	v_add_nc_u32_e32 v7, 1, v6
	v_subrev_nc_u32_e32 v8, s16, v3
	v_cmp_le_u32_e32 vcc_lo, s16, v3
	s_delay_alu instid0(VALU_DEP_2) | instskip(NEXT) | instid1(VALU_DEP_1)
	v_dual_cndmask_b32 v6, v6, v7 :: v_dual_cndmask_b32 v3, v3, v8
	v_add_nc_u32_e32 v7, 1, v6
	s_delay_alu instid0(VALU_DEP_2) | instskip(NEXT) | instid1(VALU_DEP_2)
	v_cmp_le_u32_e32 vcc_lo, s16, v3
	v_cndmask_b32_e32 v3, v6, v7, vcc_lo
	s_delay_alu instid0(VALU_DEP_1)
	v_add_nc_u32_e32 v6, 1, v3
.LBB0_6:                                ;   in Loop: Header=BB0_4 Depth=1
	s_or_b32 exec_lo, exec_lo, s0
	v_mul_hi_u32 v3, v1, v21
	s_mov_b32 s0, exec_lo
	s_delay_alu instid0(VALU_DEP_1) | instskip(NEXT) | instid1(VALU_DEP_1)
	v_mul_lo_u32 v7, v3, s29
	v_sub_nc_u32_e32 v7, v1, v7
	s_delay_alu instid0(VALU_DEP_1) | instskip(SKIP_1) | instid1(VALU_DEP_2)
	v_subrev_nc_u32_e32 v9, s29, v7
	v_cmp_le_u32_e32 vcc_lo, s29, v7
	v_dual_cndmask_b32 v7, v7, v9 :: v_dual_add_nc_u32 v8, 1, v3
	s_delay_alu instid0(VALU_DEP_1) | instskip(NEXT) | instid1(VALU_DEP_2)
	v_cndmask_b32_e32 v3, v3, v8, vcc_lo
	v_cmp_le_u32_e32 vcc_lo, s29, v7
	s_delay_alu instid0(VALU_DEP_2) | instskip(NEXT) | instid1(VALU_DEP_1)
	v_add_nc_u32_e32 v8, 1, v3
	v_cndmask_b32_e32 v7, v3, v8, vcc_lo
	s_delay_alu instid0(VALU_DEP_1) | instskip(NEXT) | instid1(VALU_DEP_1)
	v_mul_lo_u32 v3, v7, s29
	v_sub_nc_u32_e32 v1, v1, v3
	s_delay_alu instid0(VALU_DEP_1) | instskip(NEXT) | instid1(VALU_DEP_1)
	v_add_nc_u32_e32 v3, s12, v1
	v_cmpx_le_u32_e64 s33, v3
	s_cbranch_execz .LBB0_8
; %bb.7:                                ;   in Loop: Header=BB0_4 Depth=1
	v_subrev_nc_u32_e32 v0, s33, v3
	s_delay_alu instid0(VALU_DEP_1) | instskip(NEXT) | instid1(VALU_DEP_1)
	v_mul_hi_u32 v1, v0, v25
	v_mul_lo_u32 v8, v1, s15
	s_delay_alu instid0(VALU_DEP_1) | instskip(SKIP_1) | instid1(VALU_DEP_2)
	v_sub_nc_u32_e32 v0, v0, v8
	v_add_nc_u32_e32 v8, 1, v1
	v_subrev_nc_u32_e32 v9, s15, v0
	v_cmp_le_u32_e32 vcc_lo, s15, v0
	s_delay_alu instid0(VALU_DEP_2) | instskip(NEXT) | instid1(VALU_DEP_1)
	v_dual_cndmask_b32 v1, v1, v8 :: v_dual_cndmask_b32 v0, v0, v9
	v_add_nc_u32_e32 v8, 1, v1
	s_delay_alu instid0(VALU_DEP_2) | instskip(NEXT) | instid1(VALU_DEP_2)
	v_cmp_le_u32_e32 vcc_lo, s15, v0
	v_cndmask_b32_e32 v0, v1, v8, vcc_lo
	s_delay_alu instid0(VALU_DEP_1)
	v_add_nc_u32_e32 v0, 1, v0
.LBB0_8:                                ;   in Loop: Header=BB0_4 Depth=1
	s_or_b32 exec_lo, exec_lo, s0
	v_mul_hi_u32 v1, v7, v22
	s_mov_b32 s0, exec_lo
	v_mov_b32_e32 v8, 0
	s_delay_alu instid0(VALU_DEP_2) | instskip(NEXT) | instid1(VALU_DEP_1)
	v_mul_lo_u32 v1, v1, s28
	v_sub_nc_u32_e32 v1, v7, v1
	s_delay_alu instid0(VALU_DEP_1) | instskip(SKIP_1) | instid1(VALU_DEP_2)
	v_subrev_nc_u32_e32 v7, s28, v1
	v_cmp_le_u32_e32 vcc_lo, s28, v1
	v_cndmask_b32_e32 v1, v1, v7, vcc_lo
	s_delay_alu instid0(VALU_DEP_1) | instskip(SKIP_1) | instid1(VALU_DEP_2)
	v_subrev_nc_u32_e32 v7, s28, v1
	v_cmp_le_u32_e32 vcc_lo, s28, v1
	v_cndmask_b32_e32 v1, v1, v7, vcc_lo
	s_delay_alu instid0(VALU_DEP_1) | instskip(NEXT) | instid1(VALU_DEP_1)
	v_add_nc_u32_e32 v30, s11, v1
	v_cmpx_le_u32_e64 s36, v30
	s_cbranch_execz .LBB0_10
; %bb.9:                                ;   in Loop: Header=BB0_4 Depth=1
	v_subrev_nc_u32_e32 v1, s36, v30
	s_delay_alu instid0(VALU_DEP_1) | instskip(NEXT) | instid1(VALU_DEP_1)
	v_mul_hi_u32 v7, v1, v26
	v_mul_lo_u32 v8, v7, s14
	s_delay_alu instid0(VALU_DEP_1) | instskip(NEXT) | instid1(VALU_DEP_1)
	v_sub_nc_u32_e32 v1, v1, v8
	v_subrev_nc_u32_e32 v9, s14, v1
	v_cmp_le_u32_e32 vcc_lo, s14, v1
	s_delay_alu instid0(VALU_DEP_2) | instskip(NEXT) | instid1(VALU_DEP_1)
	v_dual_cndmask_b32 v1, v1, v9 :: v_dual_add_nc_u32 v8, 1, v7
	v_cndmask_b32_e32 v7, v7, v8, vcc_lo
	s_delay_alu instid0(VALU_DEP_2) | instskip(NEXT) | instid1(VALU_DEP_2)
	v_cmp_le_u32_e32 vcc_lo, s14, v1
	v_add_nc_u32_e32 v8, 1, v7
	s_delay_alu instid0(VALU_DEP_1) | instskip(NEXT) | instid1(VALU_DEP_1)
	v_cndmask_b32_e32 v1, v7, v8, vcc_lo
	v_add_nc_u32_e32 v8, 1, v1
.LBB0_10:                               ;   in Loop: Header=BB0_4 Depth=1
	s_or_b32 exec_lo, exec_lo, s0
	v_mul_hi_u32 v1, v30, v26
	s_mov_b32 s39, exec_lo
	s_delay_alu instid0(VALU_DEP_1) | instskip(SKIP_1) | instid1(VALU_DEP_2)
	v_mul_lo_u32 v7, v1, s14
	v_add_nc_u32_e32 v9, 1, v1
	v_sub_nc_u32_e32 v7, v30, v7
	s_delay_alu instid0(VALU_DEP_1) | instskip(SKIP_1) | instid1(VALU_DEP_2)
	v_subrev_nc_u32_e32 v10, s14, v7
	v_cmp_le_u32_e32 vcc_lo, s14, v7
	v_dual_cndmask_b32 v7, v7, v10 :: v_dual_mov_b32 v10, 0
	v_cndmask_b32_e32 v1, v1, v9, vcc_lo
	v_mov_b32_e32 v11, 0
	s_delay_alu instid0(VALU_DEP_3) | instskip(NEXT) | instid1(VALU_DEP_3)
	v_cmp_le_u32_e32 vcc_lo, s14, v7
	v_add_nc_u32_e32 v9, 1, v1
	s_delay_alu instid0(VALU_DEP_1) | instskip(NEXT) | instid1(VALU_DEP_1)
	v_cndmask_b32_e32 v1, v1, v9, vcc_lo
	v_add_nc_u32_e32 v1, 1, v1
	s_delay_alu instid0(VALU_DEP_1) | instskip(NEXT) | instid1(VALU_DEP_1)
	v_min_u32_e32 v31, s20, v1
	v_cmpx_lt_u32_e64 v8, v31
	s_cbranch_execz .LBB0_3
; %bb.11:                               ;   in Loop: Header=BB0_4 Depth=1
	v_mul_hi_u32 v10, v3, v25
	v_mul_hi_u32 v11, v12, v24
	;; [unrolled: 1-line block ×3, first 2 shown]
	v_mov_b32_e32 v1, v2
	v_mov_b32_e32 v9, v2
	s_mov_b32 s40, 0
	v_mul_lo_u32 v15, v10, s15
	v_mul_lo_u32 v16, v11, s16
	v_add_nc_u32_e32 v32, 1, v13
	v_mul_lo_u32 v17, v13, s9
	v_add_nc_u32_e32 v18, 1, v10
	v_sub_nc_u32_e32 v15, v3, v15
	v_sub_nc_u32_e32 v12, v12, v16
	s_delay_alu instid0(VALU_DEP_4) | instskip(NEXT) | instid1(VALU_DEP_3)
	v_sub_nc_u32_e32 v16, v4, v17
	v_cmp_le_u32_e32 vcc_lo, s15, v15
	v_subrev_nc_u32_e32 v17, s15, v15
	v_add_nc_u32_e32 v19, 1, v11
	v_cmp_le_u32_e64 s0, s16, v12
	v_cmp_le_u32_e64 s1, s9, v16
	v_cndmask_b32_e32 v10, v10, v18, vcc_lo
	v_subrev_nc_u32_e32 v18, s16, v12
	v_cndmask_b32_e32 v15, v15, v17, vcc_lo
	v_cndmask_b32_e64 v11, v11, v19, s0
	v_mov_b32_e32 v7, v2
	v_add_nc_u32_e32 v17, 1, v10
	v_cndmask_b32_e64 v12, v12, v18, s0
	v_cmp_le_u32_e32 vcc_lo, s15, v15
	v_add_nc_u32_e32 v18, 1, v11
	v_subrev_nc_u32_e32 v19, s9, v16
	v_cndmask_b32_e64 v13, v13, v32, s1
	v_cndmask_b32_e32 v10, v10, v17, vcc_lo
	v_cmp_le_u32_e32 vcc_lo, s16, v12
	s_delay_alu instid0(VALU_DEP_4)
	v_cndmask_b32_e64 v15, v16, v19, s1
	v_mul_lo_u32 v12, s16, v6
	v_add_nc_u32_e32 v16, 1, v13
	v_add_nc_u32_e32 v17, s13, v4
	v_cndmask_b32_e32 v11, v11, v18, vcc_lo
	v_add_nc_u32_e32 v10, 1, v10
	v_cmp_le_u32_e32 vcc_lo, s9, v15
	s_delay_alu instid0(VALU_DEP_3) | instskip(NEXT) | instid1(VALU_DEP_3)
	v_add_nc_u32_e32 v11, 1, v11
	v_min_u32_e32 v32, s21, v10
	v_cndmask_b32_e32 v13, v13, v16, vcc_lo
	v_sub_nc_u32_e32 v15, v17, v12
	s_delay_alu instid0(VALU_DEP_4) | instskip(SKIP_1) | instid1(VALU_DEP_4)
	v_min_u32_e32 v33, s22, v11
	v_lshlrev_b64 v[10:11], 3, v[6:7]
	v_mul_lo_u32 v7, v13, s8
	v_cmp_lt_u32_e32 vcc_lo, v0, v32
	v_sub_nc_u32_e32 v34, v15, v14
	v_cmp_lt_u32_e64 s0, v6, v33
	v_add_co_u32 v12, s1, s26, v10
	s_delay_alu instid0(VALU_DEP_1)
	v_add_co_ci_u32_e64 v13, s1, s27, v11, s1
	v_mov_b32_e32 v10, 0
	v_mov_b32_e32 v11, 0
	s_branch .LBB0_14
.LBB0_12:                               ;   in Loop: Header=BB0_14 Depth=2
	s_or_b32 exec_lo, exec_lo, s42
.LBB0_13:                               ;   in Loop: Header=BB0_14 Depth=2
	s_delay_alu instid0(SALU_CYCLE_1) | instskip(SKIP_1) | instid1(VALU_DEP_1)
	s_or_b32 exec_lo, exec_lo, s41
	v_add_co_u32 v8, s1, v8, 1
	v_add_co_ci_u32_e64 v9, s1, 0, v9, s1
	s_delay_alu instid0(VALU_DEP_2) | instskip(NEXT) | instid1(VALU_DEP_1)
	v_cmp_ge_u32_e64 s1, v8, v31
	s_or_b32 s40, s1, s40
	s_delay_alu instid0(SALU_CYCLE_1)
	s_and_not1_b32 exec_lo, exec_lo, s40
	s_cbranch_execz .LBB0_2
.LBB0_14:                               ;   Parent Loop BB0_4 Depth=1
                                        ; =>  This Loop Header: Depth=2
                                        ;       Child Loop BB0_18 Depth 3
                                        ;         Child Loop BB0_23 Depth 4
	s_and_saveexec_b32 s41, vcc_lo
	s_cbranch_execz .LBB0_13
; %bb.15:                               ;   in Loop: Header=BB0_14 Depth=2
	v_mul_lo_u32 v14, v8, s14
	s_mov_b32 s42, 0
	s_delay_alu instid0(VALU_DEP_1) | instskip(NEXT) | instid1(VALU_DEP_1)
	v_sub_nc_u32_e32 v18, v30, v14
	v_mul_hi_u32 v14, v18, v27
	s_delay_alu instid0(VALU_DEP_1) | instskip(SKIP_1) | instid1(VALU_DEP_2)
	v_mul_lo_u32 v15, v14, s17
	v_add_nc_u32_e32 v16, 1, v14
	v_sub_nc_u32_e32 v15, v18, v15
	s_delay_alu instid0(VALU_DEP_1) | instskip(SKIP_1) | instid1(VALU_DEP_1)
	v_subrev_nc_u32_e32 v17, s17, v15
	v_cmp_le_u32_e64 s1, s17, v15
	v_cndmask_b32_e64 v14, v14, v16, s1
	s_delay_alu instid0(VALU_DEP_3) | instskip(NEXT) | instid1(VALU_DEP_2)
	v_cndmask_b32_e64 v15, v15, v17, s1
	v_add_nc_u32_e32 v16, 1, v14
	s_delay_alu instid0(VALU_DEP_2) | instskip(NEXT) | instid1(VALU_DEP_1)
	v_cmp_le_u32_e64 s1, s17, v15
	v_cndmask_b32_e64 v16, v14, v16, s1
	s_delay_alu instid0(VALU_DEP_1) | instskip(NEXT) | instid1(VALU_DEP_1)
	v_add_co_u32 v17, s1, v16, v7
	v_add_co_ci_u32_e64 v19, null, 0, 0, s1
	v_mul_lo_u32 v35, v16, s17
	s_delay_alu instid0(VALU_DEP_3) | instskip(NEXT) | instid1(VALU_DEP_1)
	v_mad_u64_u32 v[14:15], null, v17, s5, 0
	v_mad_u64_u32 v[16:17], null, v19, s5, v[15:16]
	s_delay_alu instid0(VALU_DEP_3) | instskip(NEXT) | instid1(VALU_DEP_1)
	v_sub_nc_u32_e32 v15, v18, v35
	v_cmp_eq_u32_e64 s1, 0, v15
	s_delay_alu instid0(VALU_DEP_3)
	v_dual_mov_b32 v35, v16 :: v_dual_mov_b32 v16, v1
	v_mov_b32_e32 v15, v0
	s_branch .LBB0_18
.LBB0_16:                               ;   in Loop: Header=BB0_18 Depth=3
	s_or_b32 exec_lo, exec_lo, s44
.LBB0_17:                               ;   in Loop: Header=BB0_18 Depth=3
	s_delay_alu instid0(SALU_CYCLE_1) | instskip(SKIP_1) | instid1(VALU_DEP_1)
	s_or_b32 exec_lo, exec_lo, s43
	v_add_co_u32 v15, s2, v15, 1
	v_add_co_ci_u32_e64 v16, s2, 0, v16, s2
	s_delay_alu instid0(VALU_DEP_2) | instskip(NEXT) | instid1(VALU_DEP_1)
	v_cmp_ge_u32_e64 s2, v15, v32
	s_or_b32 s42, s2, s42
	s_delay_alu instid0(SALU_CYCLE_1)
	s_and_not1_b32 exec_lo, exec_lo, s42
	s_cbranch_execz .LBB0_12
.LBB0_18:                               ;   Parent Loop BB0_4 Depth=1
                                        ;     Parent Loop BB0_14 Depth=2
                                        ; =>    This Loop Header: Depth=3
                                        ;         Child Loop BB0_23 Depth 4
	s_and_saveexec_b32 s43, s0
	s_cbranch_execz .LBB0_17
; %bb.19:                               ;   in Loop: Header=BB0_18 Depth=3
	s_delay_alu instid0(VALU_DEP_1) | instskip(SKIP_1) | instid1(VALU_DEP_1)
	v_mul_lo_u32 v17, v15, s15
	s_mov_b32 s44, 0
	v_sub_nc_u32_e32 v19, v3, v17
	s_delay_alu instid0(VALU_DEP_1) | instskip(NEXT) | instid1(VALU_DEP_1)
	v_mul_hi_u32 v17, v19, v28
	v_mul_lo_u32 v18, v17, s18
	v_add_nc_u32_e32 v36, 1, v17
	s_delay_alu instid0(VALU_DEP_2) | instskip(NEXT) | instid1(VALU_DEP_1)
	v_sub_nc_u32_e32 v18, v19, v18
	v_subrev_nc_u32_e32 v37, s18, v18
	v_cmp_le_u32_e64 s2, s18, v18
	s_delay_alu instid0(VALU_DEP_1) | instskip(NEXT) | instid1(VALU_DEP_3)
	v_cndmask_b32_e64 v17, v17, v36, s2
	v_cndmask_b32_e64 v18, v18, v37, s2
	s_delay_alu instid0(VALU_DEP_2) | instskip(NEXT) | instid1(VALU_DEP_2)
	v_add_nc_u32_e32 v36, 1, v17
	v_cmp_le_u32_e64 s2, s18, v18
	s_delay_alu instid0(VALU_DEP_1) | instskip(NEXT) | instid1(VALU_DEP_1)
	v_cndmask_b32_e64 v36, v17, v36, s2
	v_add_co_u32 v37, s2, v14, v36
	v_mul_lo_u32 v36, v36, s18
	v_add_co_ci_u32_e64 v39, s2, 0, v35, s2
	s_delay_alu instid0(VALU_DEP_3) | instskip(NEXT) | instid1(VALU_DEP_1)
	v_mad_u64_u32 v[17:18], null, v37, s10, 0
	v_mad_u64_u32 v[37:38], null, v39, s10, v[18:19]
	s_delay_alu instid0(VALU_DEP_4) | instskip(SKIP_2) | instid1(VALU_DEP_3)
	v_sub_nc_u32_e32 v38, v19, v36
	v_dual_mov_b32 v19, v13 :: v_dual_mov_b32 v36, v34
	v_mov_b32_e32 v18, v12
	v_cmp_eq_u32_e64 s2, 0, v38
	v_mov_b32_e32 v38, v6
	s_branch .LBB0_23
.LBB0_20:                               ;   in Loop: Header=BB0_23 Depth=4
	s_or_b32 exec_lo, exec_lo, s46
.LBB0_21:                               ;   in Loop: Header=BB0_23 Depth=4
	s_delay_alu instid0(SALU_CYCLE_1)
	s_or_b32 exec_lo, exec_lo, s45
.LBB0_22:                               ;   in Loop: Header=BB0_23 Depth=4
	s_delay_alu instid0(SALU_CYCLE_1) | instskip(SKIP_2) | instid1(VALU_DEP_1)
	s_or_b32 exec_lo, exec_lo, s4
	v_add_nc_u32_e32 v38, 1, v38
	v_add_co_u32 v18, s4, v18, 8
	v_add_co_ci_u32_e64 v19, s4, 0, v19, s4
	s_delay_alu instid0(VALU_DEP_3) | instskip(SKIP_1) | instid1(VALU_DEP_2)
	v_cmp_ge_u32_e64 s3, v38, v33
	v_subrev_nc_u32_e32 v36, s16, v36
	s_or_b32 s44, s3, s44
	s_delay_alu instid0(SALU_CYCLE_1)
	s_and_not1_b32 exec_lo, exec_lo, s44
	s_cbranch_execz .LBB0_16
.LBB0_23:                               ;   Parent Loop BB0_4 Depth=1
                                        ;     Parent Loop BB0_14 Depth=2
                                        ;       Parent Loop BB0_18 Depth=3
                                        ; =>      This Inner Loop Header: Depth=4
	s_and_saveexec_b32 s4, s1
	s_cbranch_execz .LBB0_22
; %bb.24:                               ;   in Loop: Header=BB0_23 Depth=4
	s_and_saveexec_b32 s45, s2
	s_cbranch_execz .LBB0_21
; %bb.25:                               ;   in Loop: Header=BB0_23 Depth=4
	v_mul_hi_u32 v39, v36, v29
	s_mov_b32 s46, exec_lo
	s_delay_alu instid0(VALU_DEP_1) | instskip(SKIP_1) | instid1(VALU_DEP_2)
	v_mul_lo_u32 v40, v39, s19
	v_add_nc_u32_e32 v41, 1, v39
	v_sub_nc_u32_e32 v40, v36, v40
	s_delay_alu instid0(VALU_DEP_1) | instskip(SKIP_1) | instid1(VALU_DEP_1)
	v_subrev_nc_u32_e32 v42, s19, v40
	v_cmp_le_u32_e64 s3, s19, v40
	v_cndmask_b32_e64 v39, v39, v41, s3
	s_delay_alu instid0(VALU_DEP_3) | instskip(NEXT) | instid1(VALU_DEP_2)
	v_cndmask_b32_e64 v40, v40, v42, s3
	v_add_nc_u32_e32 v41, 1, v39
	s_delay_alu instid0(VALU_DEP_2) | instskip(NEXT) | instid1(VALU_DEP_1)
	v_cmp_le_u32_e64 s3, s19, v40
	v_cndmask_b32_e64 v39, v39, v41, s3
	s_delay_alu instid0(VALU_DEP_1) | instskip(NEXT) | instid1(VALU_DEP_1)
	v_mul_lo_u32 v40, v39, s19
	v_sub_nc_u32_e32 v40, v36, v40
	s_delay_alu instid0(VALU_DEP_1)
	v_cmpx_eq_u32_e32 0, v40
	s_cbranch_execz .LBB0_20
; %bb.26:                               ;   in Loop: Header=BB0_23 Depth=4
	v_add_co_u32 v41, s3, v17, v39
	s_delay_alu instid0(VALU_DEP_1) | instskip(NEXT) | instid1(VALU_DEP_2)
	v_add_co_ci_u32_e64 v45, s3, 0, v37, s3
	v_mad_u64_u32 v[39:40], null, v41, s20, v[8:9]
	s_delay_alu instid0(VALU_DEP_1) | instskip(NEXT) | instid1(VALU_DEP_1)
	v_mad_u64_u32 v[41:42], null, s37, v39, v[15:16]
	v_mad_u64_u32 v[43:44], null, v45, s20, v[40:41]
	s_delay_alu instid0(VALU_DEP_2) | instskip(SKIP_1) | instid1(VALU_DEP_2)
	v_mov_b32_e32 v39, v42
	v_mul_lo_u32 v42, s35, v41
	v_mad_u64_u32 v[44:45], null, s37, v43, v[39:40]
	v_mad_u64_u32 v[39:40], null, s34, v41, v[18:19]
	s_delay_alu instid0(VALU_DEP_2) | instskip(NEXT) | instid1(VALU_DEP_1)
	v_mul_lo_u32 v43, s34, v44
	v_add3_u32 v40, v42, v40, v43
	global_load_b64 v[39:40], v[39:40], off
	s_waitcnt vmcnt(0)
	v_add_f64 v[10:11], v[10:11], v[39:40]
	s_branch .LBB0_20
.LBB0_27:
	s_nop 0
	s_sendmsg sendmsg(MSG_DEALLOC_VGPRS)
	s_endpgm
	.section	.rodata,"a",@progbits
	.p2align	6, 0x0
	.amdhsa_kernel _ZN2at6native13vol2im_kernelIddEEvlPKT_jjjjjjjjjjjjjjjjjjjPS2_
		.amdhsa_group_segment_fixed_size 0
		.amdhsa_private_segment_fixed_size 0
		.amdhsa_kernarg_size 360
		.amdhsa_user_sgpr_count 15
		.amdhsa_user_sgpr_dispatch_ptr 0
		.amdhsa_user_sgpr_queue_ptr 0
		.amdhsa_user_sgpr_kernarg_segment_ptr 1
		.amdhsa_user_sgpr_dispatch_id 0
		.amdhsa_user_sgpr_private_segment_size 0
		.amdhsa_wavefront_size32 1
		.amdhsa_uses_dynamic_stack 0
		.amdhsa_enable_private_segment 0
		.amdhsa_system_sgpr_workgroup_id_x 1
		.amdhsa_system_sgpr_workgroup_id_y 0
		.amdhsa_system_sgpr_workgroup_id_z 0
		.amdhsa_system_sgpr_workgroup_info 0
		.amdhsa_system_vgpr_workitem_id 0
		.amdhsa_next_free_vgpr 46
		.amdhsa_next_free_sgpr 47
		.amdhsa_reserve_vcc 1
		.amdhsa_float_round_mode_32 0
		.amdhsa_float_round_mode_16_64 0
		.amdhsa_float_denorm_mode_32 3
		.amdhsa_float_denorm_mode_16_64 3
		.amdhsa_dx10_clamp 1
		.amdhsa_ieee_mode 1
		.amdhsa_fp16_overflow 0
		.amdhsa_workgroup_processor_mode 1
		.amdhsa_memory_ordered 1
		.amdhsa_forward_progress 0
		.amdhsa_shared_vgpr_count 0
		.amdhsa_exception_fp_ieee_invalid_op 0
		.amdhsa_exception_fp_denorm_src 0
		.amdhsa_exception_fp_ieee_div_zero 0
		.amdhsa_exception_fp_ieee_overflow 0
		.amdhsa_exception_fp_ieee_underflow 0
		.amdhsa_exception_fp_ieee_inexact 0
		.amdhsa_exception_int_div_zero 0
	.end_amdhsa_kernel
	.section	.text._ZN2at6native13vol2im_kernelIddEEvlPKT_jjjjjjjjjjjjjjjjjjjPS2_,"axG",@progbits,_ZN2at6native13vol2im_kernelIddEEvlPKT_jjjjjjjjjjjjjjjjjjjPS2_,comdat
.Lfunc_end0:
	.size	_ZN2at6native13vol2im_kernelIddEEvlPKT_jjjjjjjjjjjjjjjjjjjPS2_, .Lfunc_end0-_ZN2at6native13vol2im_kernelIddEEvlPKT_jjjjjjjjjjjjjjjjjjjPS2_
                                        ; -- End function
	.section	.AMDGPU.csdata,"",@progbits
; Kernel info:
; codeLenInByte = 2556
; NumSgprs: 49
; NumVgprs: 46
; ScratchSize: 0
; MemoryBound: 0
; FloatMode: 240
; IeeeMode: 1
; LDSByteSize: 0 bytes/workgroup (compile time only)
; SGPRBlocks: 6
; VGPRBlocks: 5
; NumSGPRsForWavesPerEU: 49
; NumVGPRsForWavesPerEU: 46
; Occupancy: 16
; WaveLimiterHint : 0
; COMPUTE_PGM_RSRC2:SCRATCH_EN: 0
; COMPUTE_PGM_RSRC2:USER_SGPR: 15
; COMPUTE_PGM_RSRC2:TRAP_HANDLER: 0
; COMPUTE_PGM_RSRC2:TGID_X_EN: 1
; COMPUTE_PGM_RSRC2:TGID_Y_EN: 0
; COMPUTE_PGM_RSRC2:TGID_Z_EN: 0
; COMPUTE_PGM_RSRC2:TIDIG_COMP_CNT: 0
	.section	.text._ZN2at6native13vol2im_kernelIffEEvlPKT_jjjjjjjjjjjjjjjjjjjPS2_,"axG",@progbits,_ZN2at6native13vol2im_kernelIffEEvlPKT_jjjjjjjjjjjjjjjjjjjPS2_,comdat
	.protected	_ZN2at6native13vol2im_kernelIffEEvlPKT_jjjjjjjjjjjjjjjjjjjPS2_ ; -- Begin function _ZN2at6native13vol2im_kernelIffEEvlPKT_jjjjjjjjjjjjjjjjjjjPS2_
	.globl	_ZN2at6native13vol2im_kernelIffEEvlPKT_jjjjjjjjjjjjjjjjjjjPS2_
	.p2align	8
	.type	_ZN2at6native13vol2im_kernelIffEEvlPKT_jjjjjjjjjjjjjjjjjjjPS2_,@function
_ZN2at6native13vol2im_kernelIffEEvlPKT_jjjjjjjjjjjjjjjjjjjPS2_: ; @_ZN2at6native13vol2im_kernelIffEEvlPKT_jjjjjjjjjjjjjjjjjjjPS2_
; %bb.0:
	s_clause 0x1
	s_load_b32 s4, s[0:1], 0x74
	s_load_b128 s[24:27], s[0:1], 0x0
	v_mov_b32_e32 v2, 0
	s_add_u32 s2, s0, 0x68
	s_addc_u32 s3, s1, 0
	s_mov_b32 s5, exec_lo
	s_delay_alu instid0(VALU_DEP_1)
	v_mov_b32_e32 v1, v2
	s_waitcnt lgkmcnt(0)
	s_and_b32 s4, s4, 0xffff
	s_delay_alu instid0(VALU_DEP_1) | instid1(SALU_CYCLE_1)
	v_mad_u64_u32 v[4:5], null, s4, s15, v[0:1]
	s_delay_alu instid0(VALU_DEP_1)
	v_cmpx_gt_i64_e64 s[24:25], v[4:5]
	s_cbranch_execz .LBB1_27
; %bb.1:
	s_clause 0x3
	s_load_b128 s[28:31], s[0:1], 0x10
	s_load_b256 s[8:15], s[0:1], 0x20
	s_load_b256 s[16:23], s[0:1], 0x40
	s_load_b64 s[6:7], s[0:1], 0x60
	s_load_b32 s0, s[2:3], 0x0
	s_waitcnt lgkmcnt(0)
	s_mov_b32 s23, 0
	v_cvt_f32_u32_e32 v0, s30
	v_cvt_f32_u32_e32 v1, s29
	s_mul_i32 s1, s29, s30
	s_add_i32 s3, s9, -1
	s_mov_b32 s5, s9
	v_rcp_iflag_f32_e32 v0, v0
	v_rcp_iflag_f32_e32 v1, v1
	s_mul_i32 s9, s1, s28
	s_sub_i32 s34, 0, s30
	v_cvt_f32_u32_e32 v12, s9
	s_sub_i32 s35, 0, s29
	v_cvt_f32_u32_e32 v3, s28
	v_cvt_f32_u32_e32 v6, s16
	;; [unrolled: 1-line block ×4, first 2 shown]
	s_waitcnt_depctr 0xfff
	v_dual_mul_f32 v0, 0x4f7ffffe, v0 :: v_dual_mul_f32 v1, 0x4f7ffffe, v1
	v_rcp_iflag_f32_e32 v12, v12
	v_cvt_f32_u32_e32 v9, s17
	v_rcp_iflag_f32_e32 v3, v3
	s_delay_alu instid0(VALU_DEP_2)
	v_cvt_u32_f32_e32 v0, v0
	v_cvt_u32_f32_e32 v1, v1
	v_rcp_iflag_f32_e32 v6, v6
	v_cvt_f32_u32_e32 v10, s18
	v_cvt_f32_u32_e32 v11, s19
	v_mul_lo_u32 v13, s34, v0
	v_mul_lo_u32 v14, s35, v1
	v_rcp_iflag_f32_e32 v8, v8
	v_rcp_iflag_f32_e32 v7, v7
	;; [unrolled: 1-line block ×5, first 2 shown]
	v_mul_f32_e32 v12, 0x4f7ffffe, v12
	v_mul_hi_u32 v13, v0, v13
	v_mul_hi_u32 v14, v1, v14
	v_dual_mul_f32 v3, 0x4f7ffffe, v3 :: v_dual_mul_f32 v6, 0x4f7ffffe, v6
	s_add_i32 s2, s10, -1
	v_mul_f32_e32 v7, 0x4f7ffffe, v7
	v_cvt_u32_f32_e32 v12, v12
	s_add_i32 s31, s8, -1
	s_delay_alu instid0(TRANS32_DEP_1)
	v_dual_mul_f32 v11, 0x4f7ffffe, v11 :: v_dual_add_nc_u32 v18, v0, v13
	v_dual_mul_f32 v0, 0x4f7ffffe, v8 :: v_dual_add_nc_u32 v19, v1, v14
	s_mul_i32 s1, s2, s19
	v_dual_mul_f32 v9, 0x4f7ffffe, v9 :: v_dual_mul_f32 v10, 0x4f7ffffe, v10
	v_cvt_u32_f32_e32 v6, v6
	s_mul_i32 s36, s31, s17
	s_add_i32 s31, s1, 1
	s_sub_i32 s1, 0, s9
	v_cvt_u32_f32_e32 v0, v0
	v_mul_lo_u32 v16, s1, v12
	s_sub_i32 s1, 0, s16
	v_cvt_u32_f32_e32 v7, v7
	v_cvt_u32_f32_e32 v9, v9
	v_mul_lo_u32 v1, s1, v6
	s_sub_i32 s1, 0, s14
	v_cvt_u32_f32_e32 v3, v3
	v_cvt_u32_f32_e32 v10, v10
	;; [unrolled: 1-line block ×3, first 2 shown]
	s_sub_i32 s2, 0, s15
	v_mul_lo_u32 v13, s1, v0
	s_sub_i32 s1, 0, s17
	s_sub_i32 s37, 0, s28
	v_mul_lo_u32 v8, s2, v7
	v_mul_lo_u32 v14, s1, v9
	s_sub_i32 s1, 0, s18
	s_sub_i32 s2, 0, s19
	v_mul_lo_u32 v15, s37, v3
	v_mul_lo_u32 v17, s1, v10
	;; [unrolled: 1-line block ×3, first 2 shown]
	v_mul_hi_u32 v16, v12, v16
	v_mul_hi_u32 v1, v6, v1
	;; [unrolled: 1-line block ×8, first 2 shown]
	v_add_nc_u32_e32 v21, v12, v16
	v_add_nc_u32_e32 v22, v6, v1
	;; [unrolled: 1-line block ×8, first 2 shown]
	s_mul_i32 s33, s3, s18
	s_add_i32 s36, s36, 1
	s_add_i32 s33, s33, 1
	s_mov_b32 s37, s21
	s_mul_i32 s38, s0, s4
	s_lshl_b64 s[34:35], s[22:23], 2
	s_branch .LBB1_4
.LBB1_2:                                ;   in Loop: Header=BB1_4 Depth=1
	s_or_b32 exec_lo, exec_lo, s40
.LBB1_3:                                ;   in Loop: Header=BB1_4 Depth=1
	s_delay_alu instid0(SALU_CYCLE_1) | instskip(SKIP_3) | instid1(VALU_DEP_3)
	s_or_b32 exec_lo, exec_lo, s39
	v_mov_b32_e32 v3, v4
	v_add_co_u32 v4, vcc_lo, v4, s38
	v_add_co_ci_u32_e32 v5, vcc_lo, 0, v5, vcc_lo
	v_ashrrev_i64 v[0:1], 30, v[2:3]
	s_delay_alu instid0(VALU_DEP_2) | instskip(NEXT) | instid1(VALU_DEP_2)
	v_cmp_le_i64_e32 vcc_lo, s[24:25], v[4:5]
	v_add_co_u32 v0, s0, s6, v0
	s_delay_alu instid0(VALU_DEP_1)
	v_add_co_ci_u32_e64 v1, s0, s7, v1, s0
	s_or_b32 s23, vcc_lo, s23
	global_store_b32 v[0:1], v7, off
	s_and_not1_b32 exec_lo, exec_lo, s23
	s_cbranch_execz .LBB1_27
.LBB1_4:                                ; =>This Loop Header: Depth=1
                                        ;     Child Loop BB1_14 Depth 2
                                        ;       Child Loop BB1_18 Depth 3
                                        ;         Child Loop BB1_23 Depth 4
	v_mul_hi_u32 v0, v4, v18
	s_mov_b32 s0, exec_lo
	s_delay_alu instid0(VALU_DEP_1) | instskip(SKIP_1) | instid1(VALU_DEP_2)
	v_mul_lo_u32 v1, v0, s30
	v_add_nc_u32_e32 v3, 1, v0
	v_sub_nc_u32_e32 v1, v4, v1
	s_delay_alu instid0(VALU_DEP_1) | instskip(SKIP_1) | instid1(VALU_DEP_2)
	v_subrev_nc_u32_e32 v6, s30, v1
	v_cmp_le_u32_e32 vcc_lo, s30, v1
	v_dual_cndmask_b32 v0, v0, v3 :: v_dual_cndmask_b32 v1, v1, v6
	s_delay_alu instid0(VALU_DEP_1) | instskip(NEXT) | instid1(VALU_DEP_2)
	v_dual_mov_b32 v6, 0 :: v_dual_add_nc_u32 v3, 1, v0
	v_cmp_le_u32_e32 vcc_lo, s30, v1
	s_delay_alu instid0(VALU_DEP_2) | instskip(NEXT) | instid1(VALU_DEP_1)
	v_cndmask_b32_e32 v1, v0, v3, vcc_lo
	v_mul_lo_u32 v12, v1, s30
	s_delay_alu instid0(VALU_DEP_1) | instskip(NEXT) | instid1(VALU_DEP_1)
	v_sub_nc_u32_e32 v0, v4, v12
	v_add_nc_u32_e32 v10, s13, v0
	v_mov_b32_e32 v0, 0
	s_delay_alu instid0(VALU_DEP_2)
	v_cmpx_le_u32_e64 s31, v10
	s_cbranch_execz .LBB1_6
; %bb.5:                                ;   in Loop: Header=BB1_4 Depth=1
	v_subrev_nc_u32_e32 v3, s31, v10
	s_delay_alu instid0(VALU_DEP_1) | instskip(NEXT) | instid1(VALU_DEP_1)
	v_mul_hi_u32 v6, v3, v22
	v_mul_lo_u32 v7, v6, s16
	s_delay_alu instid0(VALU_DEP_1) | instskip(SKIP_1) | instid1(VALU_DEP_2)
	v_sub_nc_u32_e32 v3, v3, v7
	v_add_nc_u32_e32 v7, 1, v6
	v_subrev_nc_u32_e32 v8, s16, v3
	v_cmp_le_u32_e32 vcc_lo, s16, v3
	s_delay_alu instid0(VALU_DEP_2) | instskip(NEXT) | instid1(VALU_DEP_1)
	v_dual_cndmask_b32 v6, v6, v7 :: v_dual_cndmask_b32 v3, v3, v8
	v_add_nc_u32_e32 v7, 1, v6
	s_delay_alu instid0(VALU_DEP_2) | instskip(NEXT) | instid1(VALU_DEP_2)
	v_cmp_le_u32_e32 vcc_lo, s16, v3
	v_cndmask_b32_e32 v3, v6, v7, vcc_lo
	s_delay_alu instid0(VALU_DEP_1)
	v_add_nc_u32_e32 v6, 1, v3
.LBB1_6:                                ;   in Loop: Header=BB1_4 Depth=1
	s_or_b32 exec_lo, exec_lo, s0
	v_mul_hi_u32 v3, v1, v19
	s_mov_b32 s0, exec_lo
	s_delay_alu instid0(VALU_DEP_1) | instskip(NEXT) | instid1(VALU_DEP_1)
	v_mul_lo_u32 v7, v3, s29
	v_sub_nc_u32_e32 v7, v1, v7
	s_delay_alu instid0(VALU_DEP_1) | instskip(SKIP_1) | instid1(VALU_DEP_2)
	v_subrev_nc_u32_e32 v9, s29, v7
	v_cmp_le_u32_e32 vcc_lo, s29, v7
	v_dual_cndmask_b32 v7, v7, v9 :: v_dual_add_nc_u32 v8, 1, v3
	s_delay_alu instid0(VALU_DEP_1) | instskip(NEXT) | instid1(VALU_DEP_2)
	v_cndmask_b32_e32 v3, v3, v8, vcc_lo
	v_cmp_le_u32_e32 vcc_lo, s29, v7
	s_delay_alu instid0(VALU_DEP_2) | instskip(NEXT) | instid1(VALU_DEP_1)
	v_add_nc_u32_e32 v8, 1, v3
	v_cndmask_b32_e32 v7, v3, v8, vcc_lo
	s_delay_alu instid0(VALU_DEP_1) | instskip(NEXT) | instid1(VALU_DEP_1)
	v_mul_lo_u32 v3, v7, s29
	v_sub_nc_u32_e32 v1, v1, v3
	s_delay_alu instid0(VALU_DEP_1) | instskip(NEXT) | instid1(VALU_DEP_1)
	v_add_nc_u32_e32 v3, s12, v1
	v_cmpx_le_u32_e64 s33, v3
	s_cbranch_execz .LBB1_8
; %bb.7:                                ;   in Loop: Header=BB1_4 Depth=1
	v_subrev_nc_u32_e32 v0, s33, v3
	s_delay_alu instid0(VALU_DEP_1) | instskip(NEXT) | instid1(VALU_DEP_1)
	v_mul_hi_u32 v1, v0, v23
	v_mul_lo_u32 v8, v1, s15
	s_delay_alu instid0(VALU_DEP_1) | instskip(SKIP_1) | instid1(VALU_DEP_2)
	v_sub_nc_u32_e32 v0, v0, v8
	v_add_nc_u32_e32 v8, 1, v1
	v_subrev_nc_u32_e32 v9, s15, v0
	v_cmp_le_u32_e32 vcc_lo, s15, v0
	s_delay_alu instid0(VALU_DEP_2) | instskip(NEXT) | instid1(VALU_DEP_1)
	v_dual_cndmask_b32 v1, v1, v8 :: v_dual_cndmask_b32 v0, v0, v9
	v_add_nc_u32_e32 v8, 1, v1
	s_delay_alu instid0(VALU_DEP_2) | instskip(NEXT) | instid1(VALU_DEP_2)
	v_cmp_le_u32_e32 vcc_lo, s15, v0
	v_cndmask_b32_e32 v0, v1, v8, vcc_lo
	s_delay_alu instid0(VALU_DEP_1)
	v_add_nc_u32_e32 v0, 1, v0
.LBB1_8:                                ;   in Loop: Header=BB1_4 Depth=1
	s_or_b32 exec_lo, exec_lo, s0
	v_mul_hi_u32 v1, v7, v20
	s_mov_b32 s0, exec_lo
	v_mov_b32_e32 v8, 0
	s_delay_alu instid0(VALU_DEP_2) | instskip(NEXT) | instid1(VALU_DEP_1)
	v_mul_lo_u32 v1, v1, s28
	v_sub_nc_u32_e32 v1, v7, v1
	s_delay_alu instid0(VALU_DEP_1) | instskip(SKIP_1) | instid1(VALU_DEP_2)
	v_subrev_nc_u32_e32 v7, s28, v1
	v_cmp_le_u32_e32 vcc_lo, s28, v1
	v_cndmask_b32_e32 v1, v1, v7, vcc_lo
	s_delay_alu instid0(VALU_DEP_1) | instskip(SKIP_1) | instid1(VALU_DEP_2)
	v_subrev_nc_u32_e32 v7, s28, v1
	v_cmp_le_u32_e32 vcc_lo, s28, v1
	v_cndmask_b32_e32 v1, v1, v7, vcc_lo
	s_delay_alu instid0(VALU_DEP_1) | instskip(NEXT) | instid1(VALU_DEP_1)
	v_dual_mov_b32 v7, 0 :: v_dual_add_nc_u32 v28, s11, v1
	v_cmpx_le_u32_e64 s36, v28
	s_cbranch_execz .LBB1_10
; %bb.9:                                ;   in Loop: Header=BB1_4 Depth=1
	v_subrev_nc_u32_e32 v1, s36, v28
	s_delay_alu instid0(VALU_DEP_1) | instskip(NEXT) | instid1(VALU_DEP_1)
	v_mul_hi_u32 v8, v1, v24
	v_mul_lo_u32 v9, v8, s14
	s_delay_alu instid0(VALU_DEP_1) | instskip(SKIP_1) | instid1(VALU_DEP_2)
	v_sub_nc_u32_e32 v1, v1, v9
	v_add_nc_u32_e32 v9, 1, v8
	v_subrev_nc_u32_e32 v11, s14, v1
	v_cmp_le_u32_e32 vcc_lo, s14, v1
	s_delay_alu instid0(VALU_DEP_2) | instskip(NEXT) | instid1(VALU_DEP_1)
	v_dual_cndmask_b32 v8, v8, v9 :: v_dual_cndmask_b32 v1, v1, v11
	v_add_nc_u32_e32 v9, 1, v8
	s_delay_alu instid0(VALU_DEP_2) | instskip(NEXT) | instid1(VALU_DEP_2)
	v_cmp_le_u32_e32 vcc_lo, s14, v1
	v_cndmask_b32_e32 v1, v8, v9, vcc_lo
	s_delay_alu instid0(VALU_DEP_1)
	v_add_nc_u32_e32 v8, 1, v1
.LBB1_10:                               ;   in Loop: Header=BB1_4 Depth=1
	s_or_b32 exec_lo, exec_lo, s0
	v_mul_hi_u32 v1, v28, v24
	s_mov_b32 s39, exec_lo
	s_delay_alu instid0(VALU_DEP_1) | instskip(SKIP_1) | instid1(VALU_DEP_2)
	v_mul_lo_u32 v9, v1, s14
	v_add_nc_u32_e32 v11, 1, v1
	v_sub_nc_u32_e32 v9, v28, v9
	s_delay_alu instid0(VALU_DEP_1) | instskip(SKIP_1) | instid1(VALU_DEP_4)
	v_subrev_nc_u32_e32 v13, s14, v9
	v_cmp_le_u32_e32 vcc_lo, s14, v9
	v_cndmask_b32_e32 v1, v1, v11, vcc_lo
	s_delay_alu instid0(VALU_DEP_3) | instskip(NEXT) | instid1(VALU_DEP_2)
	v_cndmask_b32_e32 v9, v9, v13, vcc_lo
	v_add_nc_u32_e32 v11, 1, v1
	s_delay_alu instid0(VALU_DEP_2) | instskip(NEXT) | instid1(VALU_DEP_2)
	v_cmp_le_u32_e32 vcc_lo, s14, v9
	v_cndmask_b32_e32 v1, v1, v11, vcc_lo
	s_delay_alu instid0(VALU_DEP_1) | instskip(NEXT) | instid1(VALU_DEP_1)
	v_add_nc_u32_e32 v1, 1, v1
	v_min_u32_e32 v29, s20, v1
	s_delay_alu instid0(VALU_DEP_1)
	v_cmpx_lt_u32_e64 v8, v29
	s_cbranch_execz .LBB1_3
; %bb.11:                               ;   in Loop: Header=BB1_4 Depth=1
	v_mul_hi_u32 v11, v3, v23
	v_mul_hi_u32 v13, v10, v22
	;; [unrolled: 1-line block ×3, first 2 shown]
	v_mov_b32_e32 v1, v2
	v_mov_b32_e32 v9, v2
	s_mov_b32 s40, 0
	v_mul_lo_u32 v15, v11, s15
	v_mul_lo_u32 v16, v13, s16
	v_add_nc_u32_e32 v32, 1, v14
	v_mul_lo_u32 v17, v14, s9
	v_add_nc_u32_e32 v30, 1, v11
	v_sub_nc_u32_e32 v15, v3, v15
	v_sub_nc_u32_e32 v10, v10, v16
	s_delay_alu instid0(VALU_DEP_4) | instskip(NEXT) | instid1(VALU_DEP_3)
	v_sub_nc_u32_e32 v16, v4, v17
	v_cmp_le_u32_e32 vcc_lo, s15, v15
	v_subrev_nc_u32_e32 v17, s15, v15
	s_delay_alu instid0(VALU_DEP_4) | instskip(NEXT) | instid1(VALU_DEP_4)
	v_cmp_le_u32_e64 s0, s16, v10
	v_cmp_le_u32_e64 s1, s9, v16
	s_delay_alu instid0(VALU_DEP_1) | instskip(SKIP_3) | instid1(VALU_DEP_3)
	v_cndmask_b32_e64 v14, v14, v32, s1
	v_cndmask_b32_e32 v11, v11, v30, vcc_lo
	v_subrev_nc_u32_e32 v30, s16, v10
	v_cndmask_b32_e32 v15, v15, v17, vcc_lo
	v_add_nc_u32_e32 v17, 1, v11
	s_delay_alu instid0(VALU_DEP_3) | instskip(NEXT) | instid1(VALU_DEP_3)
	v_cndmask_b32_e64 v10, v10, v30, s0
	v_cmp_le_u32_e32 vcc_lo, s15, v15
	s_delay_alu instid0(VALU_DEP_3) | instskip(NEXT) | instid1(VALU_DEP_3)
	v_cndmask_b32_e32 v11, v11, v17, vcc_lo
	v_cmp_le_u32_e32 vcc_lo, s16, v10
	v_add_nc_u32_e32 v31, 1, v13
	v_add_nc_u32_e32 v17, s13, v4
	s_delay_alu instid0(VALU_DEP_2) | instskip(SKIP_2) | instid1(VALU_DEP_3)
	v_cndmask_b32_e64 v13, v13, v31, s0
	v_mov_b32_e32 v7, v2
	v_subrev_nc_u32_e32 v31, s9, v16
	v_add_nc_u32_e32 v30, 1, v13
	s_delay_alu instid0(VALU_DEP_2) | instskip(SKIP_1) | instid1(VALU_DEP_3)
	v_cndmask_b32_e64 v15, v16, v31, s1
	v_add_nc_u32_e32 v16, 1, v14
	v_cndmask_b32_e32 v10, v13, v30, vcc_lo
	v_mul_lo_u32 v13, s16, v6
	s_delay_alu instid0(VALU_DEP_4) | instskip(NEXT) | instid1(VALU_DEP_3)
	v_cmp_le_u32_e32 vcc_lo, s9, v15
	v_add_nc_u32_e32 v10, 1, v10
	v_dual_cndmask_b32 v14, v14, v16 :: v_dual_add_nc_u32 v11, 1, v11
	s_delay_alu instid0(VALU_DEP_2) | instskip(NEXT) | instid1(VALU_DEP_2)
	v_min_u32_e32 v31, s22, v10
	v_min_u32_e32 v30, s21, v11
	v_lshlrev_b64 v[10:11], 2, v[6:7]
	v_sub_nc_u32_e32 v7, v17, v13
	v_mul_lo_u32 v32, v14, s8
	v_cmp_lt_u32_e64 s0, v6, v31
	v_cmp_lt_u32_e32 vcc_lo, v0, v30
	v_add_co_u32 v10, s1, s26, v10
	s_delay_alu instid0(VALU_DEP_1)
	v_add_co_ci_u32_e64 v11, s1, s27, v11, s1
	v_sub_nc_u32_e32 v33, v7, v12
	v_mov_b32_e32 v7, 0
	s_branch .LBB1_14
.LBB1_12:                               ;   in Loop: Header=BB1_14 Depth=2
	s_or_b32 exec_lo, exec_lo, s42
.LBB1_13:                               ;   in Loop: Header=BB1_14 Depth=2
	s_delay_alu instid0(SALU_CYCLE_1) | instskip(SKIP_1) | instid1(VALU_DEP_1)
	s_or_b32 exec_lo, exec_lo, s41
	v_add_co_u32 v8, s1, v8, 1
	v_add_co_ci_u32_e64 v9, s1, 0, v9, s1
	s_delay_alu instid0(VALU_DEP_2) | instskip(NEXT) | instid1(VALU_DEP_1)
	v_cmp_ge_u32_e64 s1, v8, v29
	s_or_b32 s40, s1, s40
	s_delay_alu instid0(SALU_CYCLE_1)
	s_and_not1_b32 exec_lo, exec_lo, s40
	s_cbranch_execz .LBB1_2
.LBB1_14:                               ;   Parent Loop BB1_4 Depth=1
                                        ; =>  This Loop Header: Depth=2
                                        ;       Child Loop BB1_18 Depth 3
                                        ;         Child Loop BB1_23 Depth 4
	s_and_saveexec_b32 s41, vcc_lo
	s_cbranch_execz .LBB1_13
; %bb.15:                               ;   in Loop: Header=BB1_14 Depth=2
	v_mul_lo_u32 v12, v8, s14
	s_mov_b32 s42, 0
	s_delay_alu instid0(VALU_DEP_1) | instskip(NEXT) | instid1(VALU_DEP_1)
	v_sub_nc_u32_e32 v16, v28, v12
	v_mul_hi_u32 v12, v16, v25
	s_delay_alu instid0(VALU_DEP_1) | instskip(SKIP_1) | instid1(VALU_DEP_2)
	v_mul_lo_u32 v13, v12, s17
	v_add_nc_u32_e32 v14, 1, v12
	v_sub_nc_u32_e32 v13, v16, v13
	s_delay_alu instid0(VALU_DEP_1) | instskip(SKIP_1) | instid1(VALU_DEP_1)
	v_subrev_nc_u32_e32 v15, s17, v13
	v_cmp_le_u32_e64 s1, s17, v13
	v_cndmask_b32_e64 v12, v12, v14, s1
	s_delay_alu instid0(VALU_DEP_3) | instskip(NEXT) | instid1(VALU_DEP_2)
	v_cndmask_b32_e64 v13, v13, v15, s1
	v_add_nc_u32_e32 v14, 1, v12
	s_delay_alu instid0(VALU_DEP_2) | instskip(NEXT) | instid1(VALU_DEP_1)
	v_cmp_le_u32_e64 s1, s17, v13
	v_cndmask_b32_e64 v14, v12, v14, s1
	s_delay_alu instid0(VALU_DEP_1) | instskip(NEXT) | instid1(VALU_DEP_1)
	v_add_co_u32 v15, s1, v14, v32
	v_add_co_ci_u32_e64 v17, null, 0, 0, s1
	v_mul_lo_u32 v34, v14, s17
	s_delay_alu instid0(VALU_DEP_3) | instskip(NEXT) | instid1(VALU_DEP_1)
	v_mad_u64_u32 v[12:13], null, v15, s5, 0
	v_mad_u64_u32 v[14:15], null, v17, s5, v[13:14]
	s_delay_alu instid0(VALU_DEP_3) | instskip(NEXT) | instid1(VALU_DEP_1)
	v_sub_nc_u32_e32 v13, v16, v34
	v_cmp_eq_u32_e64 s1, 0, v13
	s_delay_alu instid0(VALU_DEP_3)
	v_mov_b32_e32 v34, v14
	v_dual_mov_b32 v14, v1 :: v_dual_mov_b32 v13, v0
	s_branch .LBB1_18
.LBB1_16:                               ;   in Loop: Header=BB1_18 Depth=3
	s_or_b32 exec_lo, exec_lo, s44
.LBB1_17:                               ;   in Loop: Header=BB1_18 Depth=3
	s_delay_alu instid0(SALU_CYCLE_1) | instskip(SKIP_1) | instid1(VALU_DEP_1)
	s_or_b32 exec_lo, exec_lo, s43
	v_add_co_u32 v13, s2, v13, 1
	v_add_co_ci_u32_e64 v14, s2, 0, v14, s2
	s_delay_alu instid0(VALU_DEP_2) | instskip(NEXT) | instid1(VALU_DEP_1)
	v_cmp_ge_u32_e64 s2, v13, v30
	s_or_b32 s42, s2, s42
	s_delay_alu instid0(SALU_CYCLE_1)
	s_and_not1_b32 exec_lo, exec_lo, s42
	s_cbranch_execz .LBB1_12
.LBB1_18:                               ;   Parent Loop BB1_4 Depth=1
                                        ;     Parent Loop BB1_14 Depth=2
                                        ; =>    This Loop Header: Depth=3
                                        ;         Child Loop BB1_23 Depth 4
	s_and_saveexec_b32 s43, s0
	s_cbranch_execz .LBB1_17
; %bb.19:                               ;   in Loop: Header=BB1_18 Depth=3
	s_delay_alu instid0(VALU_DEP_1) | instskip(SKIP_1) | instid1(VALU_DEP_1)
	v_mul_lo_u32 v15, v13, s15
	s_mov_b32 s44, 0
	v_sub_nc_u32_e32 v17, v3, v15
	s_delay_alu instid0(VALU_DEP_1) | instskip(NEXT) | instid1(VALU_DEP_1)
	v_mul_hi_u32 v15, v17, v26
	v_mul_lo_u32 v16, v15, s18
	v_add_nc_u32_e32 v35, 1, v15
	s_delay_alu instid0(VALU_DEP_2) | instskip(NEXT) | instid1(VALU_DEP_1)
	v_sub_nc_u32_e32 v16, v17, v16
	v_subrev_nc_u32_e32 v36, s18, v16
	v_cmp_le_u32_e64 s2, s18, v16
	s_delay_alu instid0(VALU_DEP_1) | instskip(NEXT) | instid1(VALU_DEP_3)
	v_cndmask_b32_e64 v15, v15, v35, s2
	v_cndmask_b32_e64 v16, v16, v36, s2
	s_delay_alu instid0(VALU_DEP_2) | instskip(NEXT) | instid1(VALU_DEP_2)
	v_add_nc_u32_e32 v35, 1, v15
	v_cmp_le_u32_e64 s2, s18, v16
	s_delay_alu instid0(VALU_DEP_1) | instskip(NEXT) | instid1(VALU_DEP_1)
	v_cndmask_b32_e64 v35, v15, v35, s2
	v_add_co_u32 v36, s2, v12, v35
	v_mul_lo_u32 v35, v35, s18
	v_add_co_ci_u32_e64 v38, s2, 0, v34, s2
	s_delay_alu instid0(VALU_DEP_3) | instskip(NEXT) | instid1(VALU_DEP_1)
	v_mad_u64_u32 v[15:16], null, v36, s10, 0
	v_mad_u64_u32 v[36:37], null, v38, s10, v[16:17]
	s_delay_alu instid0(VALU_DEP_4) | instskip(SKIP_2) | instid1(VALU_DEP_3)
	v_sub_nc_u32_e32 v37, v17, v35
	v_dual_mov_b32 v17, v11 :: v_dual_mov_b32 v16, v10
	v_mov_b32_e32 v35, v33
	v_cmp_eq_u32_e64 s2, 0, v37
	v_mov_b32_e32 v37, v6
	s_branch .LBB1_23
.LBB1_20:                               ;   in Loop: Header=BB1_23 Depth=4
	s_or_b32 exec_lo, exec_lo, s46
.LBB1_21:                               ;   in Loop: Header=BB1_23 Depth=4
	s_delay_alu instid0(SALU_CYCLE_1)
	s_or_b32 exec_lo, exec_lo, s45
.LBB1_22:                               ;   in Loop: Header=BB1_23 Depth=4
	s_delay_alu instid0(SALU_CYCLE_1) | instskip(SKIP_2) | instid1(VALU_DEP_1)
	s_or_b32 exec_lo, exec_lo, s4
	v_add_nc_u32_e32 v37, 1, v37
	v_add_co_u32 v16, s4, v16, 4
	v_add_co_ci_u32_e64 v17, s4, 0, v17, s4
	s_delay_alu instid0(VALU_DEP_3) | instskip(SKIP_1) | instid1(VALU_DEP_2)
	v_cmp_ge_u32_e64 s3, v37, v31
	v_subrev_nc_u32_e32 v35, s16, v35
	s_or_b32 s44, s3, s44
	s_delay_alu instid0(SALU_CYCLE_1)
	s_and_not1_b32 exec_lo, exec_lo, s44
	s_cbranch_execz .LBB1_16
.LBB1_23:                               ;   Parent Loop BB1_4 Depth=1
                                        ;     Parent Loop BB1_14 Depth=2
                                        ;       Parent Loop BB1_18 Depth=3
                                        ; =>      This Inner Loop Header: Depth=4
	s_and_saveexec_b32 s4, s1
	s_cbranch_execz .LBB1_22
; %bb.24:                               ;   in Loop: Header=BB1_23 Depth=4
	s_and_saveexec_b32 s45, s2
	s_cbranch_execz .LBB1_21
; %bb.25:                               ;   in Loop: Header=BB1_23 Depth=4
	v_mul_hi_u32 v38, v35, v27
	s_mov_b32 s46, exec_lo
	s_delay_alu instid0(VALU_DEP_1) | instskip(SKIP_1) | instid1(VALU_DEP_2)
	v_mul_lo_u32 v39, v38, s19
	v_add_nc_u32_e32 v40, 1, v38
	v_sub_nc_u32_e32 v39, v35, v39
	s_delay_alu instid0(VALU_DEP_1) | instskip(SKIP_1) | instid1(VALU_DEP_1)
	v_subrev_nc_u32_e32 v41, s19, v39
	v_cmp_le_u32_e64 s3, s19, v39
	v_cndmask_b32_e64 v38, v38, v40, s3
	s_delay_alu instid0(VALU_DEP_3) | instskip(NEXT) | instid1(VALU_DEP_2)
	v_cndmask_b32_e64 v39, v39, v41, s3
	v_add_nc_u32_e32 v40, 1, v38
	s_delay_alu instid0(VALU_DEP_2) | instskip(NEXT) | instid1(VALU_DEP_1)
	v_cmp_le_u32_e64 s3, s19, v39
	v_cndmask_b32_e64 v38, v38, v40, s3
	s_delay_alu instid0(VALU_DEP_1) | instskip(NEXT) | instid1(VALU_DEP_1)
	v_mul_lo_u32 v39, v38, s19
	v_sub_nc_u32_e32 v39, v35, v39
	s_delay_alu instid0(VALU_DEP_1)
	v_cmpx_eq_u32_e32 0, v39
	s_cbranch_execz .LBB1_20
; %bb.26:                               ;   in Loop: Header=BB1_23 Depth=4
	v_add_co_u32 v40, s3, v15, v38
	s_delay_alu instid0(VALU_DEP_1) | instskip(NEXT) | instid1(VALU_DEP_2)
	v_add_co_ci_u32_e64 v44, s3, 0, v36, s3
	v_mad_u64_u32 v[38:39], null, v40, s20, v[8:9]
	s_delay_alu instid0(VALU_DEP_1) | instskip(NEXT) | instid1(VALU_DEP_1)
	v_mad_u64_u32 v[40:41], null, s37, v38, v[13:14]
	v_mad_u64_u32 v[42:43], null, v44, s20, v[39:40]
	s_delay_alu instid0(VALU_DEP_2) | instskip(SKIP_1) | instid1(VALU_DEP_2)
	v_mov_b32_e32 v38, v41
	v_mul_lo_u32 v41, s35, v40
	v_mad_u64_u32 v[43:44], null, s37, v42, v[38:39]
	v_mad_u64_u32 v[38:39], null, s34, v40, v[16:17]
	s_delay_alu instid0(VALU_DEP_2) | instskip(NEXT) | instid1(VALU_DEP_1)
	v_mul_lo_u32 v42, s34, v43
	v_add3_u32 v39, v41, v39, v42
	global_load_b32 v38, v[38:39], off
	s_waitcnt vmcnt(0)
	v_add_f32_e32 v7, v7, v38
	s_branch .LBB1_20
.LBB1_27:
	s_nop 0
	s_sendmsg sendmsg(MSG_DEALLOC_VGPRS)
	s_endpgm
	.section	.rodata,"a",@progbits
	.p2align	6, 0x0
	.amdhsa_kernel _ZN2at6native13vol2im_kernelIffEEvlPKT_jjjjjjjjjjjjjjjjjjjPS2_
		.amdhsa_group_segment_fixed_size 0
		.amdhsa_private_segment_fixed_size 0
		.amdhsa_kernarg_size 360
		.amdhsa_user_sgpr_count 15
		.amdhsa_user_sgpr_dispatch_ptr 0
		.amdhsa_user_sgpr_queue_ptr 0
		.amdhsa_user_sgpr_kernarg_segment_ptr 1
		.amdhsa_user_sgpr_dispatch_id 0
		.amdhsa_user_sgpr_private_segment_size 0
		.amdhsa_wavefront_size32 1
		.amdhsa_uses_dynamic_stack 0
		.amdhsa_enable_private_segment 0
		.amdhsa_system_sgpr_workgroup_id_x 1
		.amdhsa_system_sgpr_workgroup_id_y 0
		.amdhsa_system_sgpr_workgroup_id_z 0
		.amdhsa_system_sgpr_workgroup_info 0
		.amdhsa_system_vgpr_workitem_id 0
		.amdhsa_next_free_vgpr 45
		.amdhsa_next_free_sgpr 47
		.amdhsa_reserve_vcc 1
		.amdhsa_float_round_mode_32 0
		.amdhsa_float_round_mode_16_64 0
		.amdhsa_float_denorm_mode_32 3
		.amdhsa_float_denorm_mode_16_64 3
		.amdhsa_dx10_clamp 1
		.amdhsa_ieee_mode 1
		.amdhsa_fp16_overflow 0
		.amdhsa_workgroup_processor_mode 1
		.amdhsa_memory_ordered 1
		.amdhsa_forward_progress 0
		.amdhsa_shared_vgpr_count 0
		.amdhsa_exception_fp_ieee_invalid_op 0
		.amdhsa_exception_fp_denorm_src 0
		.amdhsa_exception_fp_ieee_div_zero 0
		.amdhsa_exception_fp_ieee_overflow 0
		.amdhsa_exception_fp_ieee_underflow 0
		.amdhsa_exception_fp_ieee_inexact 0
		.amdhsa_exception_int_div_zero 0
	.end_amdhsa_kernel
	.section	.text._ZN2at6native13vol2im_kernelIffEEvlPKT_jjjjjjjjjjjjjjjjjjjPS2_,"axG",@progbits,_ZN2at6native13vol2im_kernelIffEEvlPKT_jjjjjjjjjjjjjjjjjjjPS2_,comdat
.Lfunc_end1:
	.size	_ZN2at6native13vol2im_kernelIffEEvlPKT_jjjjjjjjjjjjjjjjjjjPS2_, .Lfunc_end1-_ZN2at6native13vol2im_kernelIffEEvlPKT_jjjjjjjjjjjjjjjjjjjPS2_
                                        ; -- End function
	.section	.AMDGPU.csdata,"",@progbits
; Kernel info:
; codeLenInByte = 2568
; NumSgprs: 49
; NumVgprs: 45
; ScratchSize: 0
; MemoryBound: 0
; FloatMode: 240
; IeeeMode: 1
; LDSByteSize: 0 bytes/workgroup (compile time only)
; SGPRBlocks: 6
; VGPRBlocks: 5
; NumSGPRsForWavesPerEU: 49
; NumVGPRsForWavesPerEU: 45
; Occupancy: 16
; WaveLimiterHint : 0
; COMPUTE_PGM_RSRC2:SCRATCH_EN: 0
; COMPUTE_PGM_RSRC2:USER_SGPR: 15
; COMPUTE_PGM_RSRC2:TRAP_HANDLER: 0
; COMPUTE_PGM_RSRC2:TGID_X_EN: 1
; COMPUTE_PGM_RSRC2:TGID_Y_EN: 0
; COMPUTE_PGM_RSRC2:TGID_Z_EN: 0
; COMPUTE_PGM_RSRC2:TIDIG_COMP_CNT: 0
	.section	.text._ZN2at6native13vol2im_kernelIN3c104HalfEfEEvlPKT_jjjjjjjjjjjjjjjjjjjPS4_,"axG",@progbits,_ZN2at6native13vol2im_kernelIN3c104HalfEfEEvlPKT_jjjjjjjjjjjjjjjjjjjPS4_,comdat
	.protected	_ZN2at6native13vol2im_kernelIN3c104HalfEfEEvlPKT_jjjjjjjjjjjjjjjjjjjPS4_ ; -- Begin function _ZN2at6native13vol2im_kernelIN3c104HalfEfEEvlPKT_jjjjjjjjjjjjjjjjjjjPS4_
	.globl	_ZN2at6native13vol2im_kernelIN3c104HalfEfEEvlPKT_jjjjjjjjjjjjjjjjjjjPS4_
	.p2align	8
	.type	_ZN2at6native13vol2im_kernelIN3c104HalfEfEEvlPKT_jjjjjjjjjjjjjjjjjjjPS4_,@function
_ZN2at6native13vol2im_kernelIN3c104HalfEfEEvlPKT_jjjjjjjjjjjjjjjjjjjPS4_: ; @_ZN2at6native13vol2im_kernelIN3c104HalfEfEEvlPKT_jjjjjjjjjjjjjjjjjjjPS4_
; %bb.0:
	s_clause 0x1
	s_load_b32 s4, s[0:1], 0x74
	s_load_b128 s[24:27], s[0:1], 0x0
	v_mov_b32_e32 v2, 0
	s_add_u32 s2, s0, 0x68
	s_addc_u32 s3, s1, 0
	s_mov_b32 s5, exec_lo
	s_delay_alu instid0(VALU_DEP_1)
	v_mov_b32_e32 v1, v2
	s_waitcnt lgkmcnt(0)
	s_and_b32 s4, s4, 0xffff
	s_delay_alu instid0(VALU_DEP_1) | instid1(SALU_CYCLE_1)
	v_mad_u64_u32 v[4:5], null, s4, s15, v[0:1]
	s_delay_alu instid0(VALU_DEP_1)
	v_cmpx_gt_i64_e64 s[24:25], v[4:5]
	s_cbranch_execz .LBB2_27
; %bb.1:
	s_clause 0x3
	s_load_b128 s[28:31], s[0:1], 0x10
	s_load_b256 s[8:15], s[0:1], 0x20
	s_load_b256 s[16:23], s[0:1], 0x40
	s_load_b64 s[6:7], s[0:1], 0x60
	s_load_b32 s0, s[2:3], 0x0
	s_waitcnt lgkmcnt(0)
	s_mov_b32 s23, 0
	v_cvt_f32_u32_e32 v0, s30
	v_cvt_f32_u32_e32 v1, s29
	s_mul_i32 s1, s29, s30
	s_add_i32 s3, s9, -1
	s_mov_b32 s5, s9
	v_rcp_iflag_f32_e32 v0, v0
	v_rcp_iflag_f32_e32 v1, v1
	s_mul_i32 s9, s1, s28
	s_sub_i32 s34, 0, s30
	v_cvt_f32_u32_e32 v12, s9
	s_sub_i32 s35, 0, s29
	v_cvt_f32_u32_e32 v3, s28
	v_cvt_f32_u32_e32 v6, s16
	;; [unrolled: 1-line block ×4, first 2 shown]
	s_waitcnt_depctr 0xfff
	v_dual_mul_f32 v0, 0x4f7ffffe, v0 :: v_dual_mul_f32 v1, 0x4f7ffffe, v1
	v_rcp_iflag_f32_e32 v12, v12
	v_cvt_f32_u32_e32 v9, s17
	v_rcp_iflag_f32_e32 v3, v3
	s_delay_alu instid0(VALU_DEP_2)
	v_cvt_u32_f32_e32 v0, v0
	v_cvt_u32_f32_e32 v1, v1
	v_rcp_iflag_f32_e32 v6, v6
	v_cvt_f32_u32_e32 v10, s18
	v_cvt_f32_u32_e32 v11, s19
	v_mul_lo_u32 v13, s34, v0
	v_mul_lo_u32 v14, s35, v1
	v_rcp_iflag_f32_e32 v8, v8
	v_rcp_iflag_f32_e32 v7, v7
	;; [unrolled: 1-line block ×5, first 2 shown]
	v_mul_f32_e32 v12, 0x4f7ffffe, v12
	v_mul_hi_u32 v13, v0, v13
	v_mul_hi_u32 v14, v1, v14
	v_dual_mul_f32 v3, 0x4f7ffffe, v3 :: v_dual_mul_f32 v6, 0x4f7ffffe, v6
	s_add_i32 s2, s10, -1
	v_mul_f32_e32 v7, 0x4f7ffffe, v7
	v_cvt_u32_f32_e32 v12, v12
	s_add_i32 s31, s8, -1
	s_delay_alu instid0(TRANS32_DEP_1)
	v_dual_mul_f32 v11, 0x4f7ffffe, v11 :: v_dual_add_nc_u32 v18, v0, v13
	v_dual_mul_f32 v0, 0x4f7ffffe, v8 :: v_dual_add_nc_u32 v19, v1, v14
	s_mul_i32 s1, s2, s19
	v_dual_mul_f32 v9, 0x4f7ffffe, v9 :: v_dual_mul_f32 v10, 0x4f7ffffe, v10
	v_cvt_u32_f32_e32 v6, v6
	s_mul_i32 s36, s31, s17
	s_add_i32 s31, s1, 1
	s_sub_i32 s1, 0, s9
	v_cvt_u32_f32_e32 v0, v0
	v_mul_lo_u32 v16, s1, v12
	s_sub_i32 s1, 0, s16
	v_cvt_u32_f32_e32 v7, v7
	v_cvt_u32_f32_e32 v9, v9
	v_mul_lo_u32 v1, s1, v6
	s_sub_i32 s1, 0, s14
	v_cvt_u32_f32_e32 v3, v3
	v_cvt_u32_f32_e32 v10, v10
	;; [unrolled: 1-line block ×3, first 2 shown]
	s_sub_i32 s2, 0, s15
	v_mul_lo_u32 v13, s1, v0
	s_sub_i32 s1, 0, s17
	s_sub_i32 s37, 0, s28
	v_mul_lo_u32 v8, s2, v7
	v_mul_lo_u32 v14, s1, v9
	s_sub_i32 s1, 0, s18
	s_sub_i32 s2, 0, s19
	v_mul_lo_u32 v15, s37, v3
	v_mul_lo_u32 v17, s1, v10
	;; [unrolled: 1-line block ×3, first 2 shown]
	v_mul_hi_u32 v16, v12, v16
	v_mul_hi_u32 v1, v6, v1
	;; [unrolled: 1-line block ×8, first 2 shown]
	v_add_nc_u32_e32 v21, v12, v16
	v_add_nc_u32_e32 v22, v6, v1
	;; [unrolled: 1-line block ×8, first 2 shown]
	s_mul_i32 s33, s3, s18
	s_add_i32 s36, s36, 1
	s_add_i32 s33, s33, 1
	s_mov_b32 s37, s21
	s_mul_i32 s38, s0, s4
	s_lshl_b64 s[34:35], s[22:23], 1
	s_branch .LBB2_4
.LBB2_2:                                ;   in Loop: Header=BB2_4 Depth=1
	s_or_b32 exec_lo, exec_lo, s40
.LBB2_3:                                ;   in Loop: Header=BB2_4 Depth=1
	s_delay_alu instid0(SALU_CYCLE_1) | instskip(SKIP_3) | instid1(VALU_DEP_3)
	s_or_b32 exec_lo, exec_lo, s39
	v_mov_b32_e32 v3, v4
	v_add_co_u32 v4, vcc_lo, v4, s38
	v_add_co_ci_u32_e32 v5, vcc_lo, 0, v5, vcc_lo
	v_ashrrev_i64 v[0:1], 31, v[2:3]
	v_cvt_f16_f32_e32 v3, v7
	s_delay_alu instid0(VALU_DEP_3) | instskip(NEXT) | instid1(VALU_DEP_3)
	v_cmp_le_i64_e32 vcc_lo, s[24:25], v[4:5]
	v_add_co_u32 v0, s0, s6, v0
	s_delay_alu instid0(VALU_DEP_1)
	v_add_co_ci_u32_e64 v1, s0, s7, v1, s0
	s_or_b32 s23, vcc_lo, s23
	global_store_b16 v[0:1], v3, off
	s_and_not1_b32 exec_lo, exec_lo, s23
	s_cbranch_execz .LBB2_27
.LBB2_4:                                ; =>This Loop Header: Depth=1
                                        ;     Child Loop BB2_14 Depth 2
                                        ;       Child Loop BB2_18 Depth 3
                                        ;         Child Loop BB2_23 Depth 4
	v_mul_hi_u32 v0, v4, v18
	s_mov_b32 s0, exec_lo
	s_delay_alu instid0(VALU_DEP_1) | instskip(SKIP_1) | instid1(VALU_DEP_2)
	v_mul_lo_u32 v1, v0, s30
	v_add_nc_u32_e32 v3, 1, v0
	v_sub_nc_u32_e32 v1, v4, v1
	s_delay_alu instid0(VALU_DEP_1) | instskip(SKIP_1) | instid1(VALU_DEP_2)
	v_subrev_nc_u32_e32 v6, s30, v1
	v_cmp_le_u32_e32 vcc_lo, s30, v1
	v_dual_cndmask_b32 v0, v0, v3 :: v_dual_cndmask_b32 v1, v1, v6
	s_delay_alu instid0(VALU_DEP_1) | instskip(NEXT) | instid1(VALU_DEP_2)
	v_dual_mov_b32 v6, 0 :: v_dual_add_nc_u32 v3, 1, v0
	v_cmp_le_u32_e32 vcc_lo, s30, v1
	s_delay_alu instid0(VALU_DEP_2) | instskip(NEXT) | instid1(VALU_DEP_1)
	v_cndmask_b32_e32 v1, v0, v3, vcc_lo
	v_mul_lo_u32 v12, v1, s30
	s_delay_alu instid0(VALU_DEP_1) | instskip(NEXT) | instid1(VALU_DEP_1)
	v_sub_nc_u32_e32 v0, v4, v12
	v_add_nc_u32_e32 v10, s13, v0
	v_mov_b32_e32 v0, 0
	s_delay_alu instid0(VALU_DEP_2)
	v_cmpx_le_u32_e64 s31, v10
	s_cbranch_execz .LBB2_6
; %bb.5:                                ;   in Loop: Header=BB2_4 Depth=1
	v_subrev_nc_u32_e32 v3, s31, v10
	s_delay_alu instid0(VALU_DEP_1) | instskip(NEXT) | instid1(VALU_DEP_1)
	v_mul_hi_u32 v6, v3, v22
	v_mul_lo_u32 v7, v6, s16
	s_delay_alu instid0(VALU_DEP_1) | instskip(SKIP_1) | instid1(VALU_DEP_2)
	v_sub_nc_u32_e32 v3, v3, v7
	v_add_nc_u32_e32 v7, 1, v6
	v_subrev_nc_u32_e32 v8, s16, v3
	v_cmp_le_u32_e32 vcc_lo, s16, v3
	s_delay_alu instid0(VALU_DEP_2) | instskip(NEXT) | instid1(VALU_DEP_1)
	v_dual_cndmask_b32 v6, v6, v7 :: v_dual_cndmask_b32 v3, v3, v8
	v_add_nc_u32_e32 v7, 1, v6
	s_delay_alu instid0(VALU_DEP_2) | instskip(NEXT) | instid1(VALU_DEP_2)
	v_cmp_le_u32_e32 vcc_lo, s16, v3
	v_cndmask_b32_e32 v3, v6, v7, vcc_lo
	s_delay_alu instid0(VALU_DEP_1)
	v_add_nc_u32_e32 v6, 1, v3
.LBB2_6:                                ;   in Loop: Header=BB2_4 Depth=1
	s_or_b32 exec_lo, exec_lo, s0
	v_mul_hi_u32 v3, v1, v19
	s_mov_b32 s0, exec_lo
	s_delay_alu instid0(VALU_DEP_1) | instskip(NEXT) | instid1(VALU_DEP_1)
	v_mul_lo_u32 v7, v3, s29
	v_sub_nc_u32_e32 v7, v1, v7
	s_delay_alu instid0(VALU_DEP_1) | instskip(SKIP_1) | instid1(VALU_DEP_2)
	v_subrev_nc_u32_e32 v9, s29, v7
	v_cmp_le_u32_e32 vcc_lo, s29, v7
	v_dual_cndmask_b32 v7, v7, v9 :: v_dual_add_nc_u32 v8, 1, v3
	s_delay_alu instid0(VALU_DEP_1) | instskip(NEXT) | instid1(VALU_DEP_2)
	v_cndmask_b32_e32 v3, v3, v8, vcc_lo
	v_cmp_le_u32_e32 vcc_lo, s29, v7
	s_delay_alu instid0(VALU_DEP_2) | instskip(NEXT) | instid1(VALU_DEP_1)
	v_add_nc_u32_e32 v8, 1, v3
	v_cndmask_b32_e32 v7, v3, v8, vcc_lo
	s_delay_alu instid0(VALU_DEP_1) | instskip(NEXT) | instid1(VALU_DEP_1)
	v_mul_lo_u32 v3, v7, s29
	v_sub_nc_u32_e32 v1, v1, v3
	s_delay_alu instid0(VALU_DEP_1) | instskip(NEXT) | instid1(VALU_DEP_1)
	v_add_nc_u32_e32 v3, s12, v1
	v_cmpx_le_u32_e64 s33, v3
	s_cbranch_execz .LBB2_8
; %bb.7:                                ;   in Loop: Header=BB2_4 Depth=1
	v_subrev_nc_u32_e32 v0, s33, v3
	s_delay_alu instid0(VALU_DEP_1) | instskip(NEXT) | instid1(VALU_DEP_1)
	v_mul_hi_u32 v1, v0, v23
	v_mul_lo_u32 v8, v1, s15
	s_delay_alu instid0(VALU_DEP_1) | instskip(SKIP_1) | instid1(VALU_DEP_2)
	v_sub_nc_u32_e32 v0, v0, v8
	v_add_nc_u32_e32 v8, 1, v1
	v_subrev_nc_u32_e32 v9, s15, v0
	v_cmp_le_u32_e32 vcc_lo, s15, v0
	s_delay_alu instid0(VALU_DEP_2) | instskip(NEXT) | instid1(VALU_DEP_1)
	v_dual_cndmask_b32 v1, v1, v8 :: v_dual_cndmask_b32 v0, v0, v9
	v_add_nc_u32_e32 v8, 1, v1
	s_delay_alu instid0(VALU_DEP_2) | instskip(NEXT) | instid1(VALU_DEP_2)
	v_cmp_le_u32_e32 vcc_lo, s15, v0
	v_cndmask_b32_e32 v0, v1, v8, vcc_lo
	s_delay_alu instid0(VALU_DEP_1)
	v_add_nc_u32_e32 v0, 1, v0
.LBB2_8:                                ;   in Loop: Header=BB2_4 Depth=1
	s_or_b32 exec_lo, exec_lo, s0
	v_mul_hi_u32 v1, v7, v20
	s_mov_b32 s0, exec_lo
	v_mov_b32_e32 v8, 0
	s_delay_alu instid0(VALU_DEP_2) | instskip(NEXT) | instid1(VALU_DEP_1)
	v_mul_lo_u32 v1, v1, s28
	v_sub_nc_u32_e32 v1, v7, v1
	s_delay_alu instid0(VALU_DEP_1) | instskip(SKIP_1) | instid1(VALU_DEP_2)
	v_subrev_nc_u32_e32 v7, s28, v1
	v_cmp_le_u32_e32 vcc_lo, s28, v1
	v_cndmask_b32_e32 v1, v1, v7, vcc_lo
	s_delay_alu instid0(VALU_DEP_1) | instskip(SKIP_1) | instid1(VALU_DEP_2)
	v_subrev_nc_u32_e32 v7, s28, v1
	v_cmp_le_u32_e32 vcc_lo, s28, v1
	v_cndmask_b32_e32 v1, v1, v7, vcc_lo
	s_delay_alu instid0(VALU_DEP_1) | instskip(NEXT) | instid1(VALU_DEP_1)
	v_dual_mov_b32 v7, 0 :: v_dual_add_nc_u32 v28, s11, v1
	v_cmpx_le_u32_e64 s36, v28
	s_cbranch_execz .LBB2_10
; %bb.9:                                ;   in Loop: Header=BB2_4 Depth=1
	v_subrev_nc_u32_e32 v1, s36, v28
	s_delay_alu instid0(VALU_DEP_1) | instskip(NEXT) | instid1(VALU_DEP_1)
	v_mul_hi_u32 v8, v1, v24
	v_mul_lo_u32 v9, v8, s14
	s_delay_alu instid0(VALU_DEP_1) | instskip(SKIP_1) | instid1(VALU_DEP_2)
	v_sub_nc_u32_e32 v1, v1, v9
	v_add_nc_u32_e32 v9, 1, v8
	v_subrev_nc_u32_e32 v11, s14, v1
	v_cmp_le_u32_e32 vcc_lo, s14, v1
	s_delay_alu instid0(VALU_DEP_2) | instskip(NEXT) | instid1(VALU_DEP_1)
	v_dual_cndmask_b32 v8, v8, v9 :: v_dual_cndmask_b32 v1, v1, v11
	v_add_nc_u32_e32 v9, 1, v8
	s_delay_alu instid0(VALU_DEP_2) | instskip(NEXT) | instid1(VALU_DEP_2)
	v_cmp_le_u32_e32 vcc_lo, s14, v1
	v_cndmask_b32_e32 v1, v8, v9, vcc_lo
	s_delay_alu instid0(VALU_DEP_1)
	v_add_nc_u32_e32 v8, 1, v1
.LBB2_10:                               ;   in Loop: Header=BB2_4 Depth=1
	s_or_b32 exec_lo, exec_lo, s0
	v_mul_hi_u32 v1, v28, v24
	s_mov_b32 s39, exec_lo
	s_delay_alu instid0(VALU_DEP_1) | instskip(SKIP_1) | instid1(VALU_DEP_2)
	v_mul_lo_u32 v9, v1, s14
	v_add_nc_u32_e32 v11, 1, v1
	v_sub_nc_u32_e32 v9, v28, v9
	s_delay_alu instid0(VALU_DEP_1) | instskip(SKIP_1) | instid1(VALU_DEP_4)
	v_subrev_nc_u32_e32 v13, s14, v9
	v_cmp_le_u32_e32 vcc_lo, s14, v9
	v_cndmask_b32_e32 v1, v1, v11, vcc_lo
	s_delay_alu instid0(VALU_DEP_3) | instskip(NEXT) | instid1(VALU_DEP_2)
	v_cndmask_b32_e32 v9, v9, v13, vcc_lo
	v_add_nc_u32_e32 v11, 1, v1
	s_delay_alu instid0(VALU_DEP_2) | instskip(NEXT) | instid1(VALU_DEP_2)
	v_cmp_le_u32_e32 vcc_lo, s14, v9
	v_cndmask_b32_e32 v1, v1, v11, vcc_lo
	s_delay_alu instid0(VALU_DEP_1) | instskip(NEXT) | instid1(VALU_DEP_1)
	v_add_nc_u32_e32 v1, 1, v1
	v_min_u32_e32 v29, s20, v1
	s_delay_alu instid0(VALU_DEP_1)
	v_cmpx_lt_u32_e64 v8, v29
	s_cbranch_execz .LBB2_3
; %bb.11:                               ;   in Loop: Header=BB2_4 Depth=1
	v_mul_hi_u32 v11, v3, v23
	v_mul_hi_u32 v13, v10, v22
	;; [unrolled: 1-line block ×3, first 2 shown]
	v_mov_b32_e32 v1, v2
	v_mov_b32_e32 v9, v2
	s_mov_b32 s40, 0
	v_mul_lo_u32 v15, v11, s15
	v_mul_lo_u32 v16, v13, s16
	v_add_nc_u32_e32 v32, 1, v14
	v_mul_lo_u32 v17, v14, s9
	v_add_nc_u32_e32 v30, 1, v11
	v_sub_nc_u32_e32 v15, v3, v15
	v_sub_nc_u32_e32 v10, v10, v16
	s_delay_alu instid0(VALU_DEP_4) | instskip(NEXT) | instid1(VALU_DEP_3)
	v_sub_nc_u32_e32 v16, v4, v17
	v_cmp_le_u32_e32 vcc_lo, s15, v15
	v_subrev_nc_u32_e32 v17, s15, v15
	s_delay_alu instid0(VALU_DEP_4) | instskip(NEXT) | instid1(VALU_DEP_4)
	v_cmp_le_u32_e64 s0, s16, v10
	v_cmp_le_u32_e64 s1, s9, v16
	s_delay_alu instid0(VALU_DEP_1) | instskip(SKIP_3) | instid1(VALU_DEP_3)
	v_cndmask_b32_e64 v14, v14, v32, s1
	v_cndmask_b32_e32 v11, v11, v30, vcc_lo
	v_subrev_nc_u32_e32 v30, s16, v10
	v_cndmask_b32_e32 v15, v15, v17, vcc_lo
	v_add_nc_u32_e32 v17, 1, v11
	s_delay_alu instid0(VALU_DEP_3) | instskip(NEXT) | instid1(VALU_DEP_3)
	v_cndmask_b32_e64 v10, v10, v30, s0
	v_cmp_le_u32_e32 vcc_lo, s15, v15
	s_delay_alu instid0(VALU_DEP_3) | instskip(NEXT) | instid1(VALU_DEP_3)
	v_cndmask_b32_e32 v11, v11, v17, vcc_lo
	v_cmp_le_u32_e32 vcc_lo, s16, v10
	v_add_nc_u32_e32 v31, 1, v13
	v_add_nc_u32_e32 v17, s13, v4
	s_delay_alu instid0(VALU_DEP_2) | instskip(SKIP_2) | instid1(VALU_DEP_3)
	v_cndmask_b32_e64 v13, v13, v31, s0
	v_mov_b32_e32 v7, v2
	v_subrev_nc_u32_e32 v31, s9, v16
	v_add_nc_u32_e32 v30, 1, v13
	s_delay_alu instid0(VALU_DEP_2) | instskip(SKIP_1) | instid1(VALU_DEP_3)
	v_cndmask_b32_e64 v15, v16, v31, s1
	v_add_nc_u32_e32 v16, 1, v14
	v_cndmask_b32_e32 v10, v13, v30, vcc_lo
	v_mul_lo_u32 v13, s16, v6
	s_delay_alu instid0(VALU_DEP_4) | instskip(NEXT) | instid1(VALU_DEP_3)
	v_cmp_le_u32_e32 vcc_lo, s9, v15
	v_add_nc_u32_e32 v10, 1, v10
	v_dual_cndmask_b32 v14, v14, v16 :: v_dual_add_nc_u32 v11, 1, v11
	s_delay_alu instid0(VALU_DEP_2) | instskip(NEXT) | instid1(VALU_DEP_2)
	v_min_u32_e32 v31, s22, v10
	v_min_u32_e32 v30, s21, v11
	v_lshlrev_b64 v[10:11], 1, v[6:7]
	v_sub_nc_u32_e32 v7, v17, v13
	v_mul_lo_u32 v32, v14, s8
	v_cmp_lt_u32_e64 s0, v6, v31
	v_cmp_lt_u32_e32 vcc_lo, v0, v30
	v_add_co_u32 v10, s1, s26, v10
	s_delay_alu instid0(VALU_DEP_1)
	v_add_co_ci_u32_e64 v11, s1, s27, v11, s1
	v_sub_nc_u32_e32 v33, v7, v12
	v_mov_b32_e32 v7, 0
	s_branch .LBB2_14
.LBB2_12:                               ;   in Loop: Header=BB2_14 Depth=2
	s_or_b32 exec_lo, exec_lo, s42
.LBB2_13:                               ;   in Loop: Header=BB2_14 Depth=2
	s_delay_alu instid0(SALU_CYCLE_1) | instskip(SKIP_1) | instid1(VALU_DEP_1)
	s_or_b32 exec_lo, exec_lo, s41
	v_add_co_u32 v8, s1, v8, 1
	v_add_co_ci_u32_e64 v9, s1, 0, v9, s1
	s_delay_alu instid0(VALU_DEP_2) | instskip(NEXT) | instid1(VALU_DEP_1)
	v_cmp_ge_u32_e64 s1, v8, v29
	s_or_b32 s40, s1, s40
	s_delay_alu instid0(SALU_CYCLE_1)
	s_and_not1_b32 exec_lo, exec_lo, s40
	s_cbranch_execz .LBB2_2
.LBB2_14:                               ;   Parent Loop BB2_4 Depth=1
                                        ; =>  This Loop Header: Depth=2
                                        ;       Child Loop BB2_18 Depth 3
                                        ;         Child Loop BB2_23 Depth 4
	s_and_saveexec_b32 s41, vcc_lo
	s_cbranch_execz .LBB2_13
; %bb.15:                               ;   in Loop: Header=BB2_14 Depth=2
	v_mul_lo_u32 v12, v8, s14
	s_mov_b32 s42, 0
	s_delay_alu instid0(VALU_DEP_1) | instskip(NEXT) | instid1(VALU_DEP_1)
	v_sub_nc_u32_e32 v16, v28, v12
	v_mul_hi_u32 v12, v16, v25
	s_delay_alu instid0(VALU_DEP_1) | instskip(SKIP_1) | instid1(VALU_DEP_2)
	v_mul_lo_u32 v13, v12, s17
	v_add_nc_u32_e32 v14, 1, v12
	v_sub_nc_u32_e32 v13, v16, v13
	s_delay_alu instid0(VALU_DEP_1) | instskip(SKIP_1) | instid1(VALU_DEP_1)
	v_subrev_nc_u32_e32 v15, s17, v13
	v_cmp_le_u32_e64 s1, s17, v13
	v_cndmask_b32_e64 v12, v12, v14, s1
	s_delay_alu instid0(VALU_DEP_3) | instskip(NEXT) | instid1(VALU_DEP_2)
	v_cndmask_b32_e64 v13, v13, v15, s1
	v_add_nc_u32_e32 v14, 1, v12
	s_delay_alu instid0(VALU_DEP_2) | instskip(NEXT) | instid1(VALU_DEP_1)
	v_cmp_le_u32_e64 s1, s17, v13
	v_cndmask_b32_e64 v14, v12, v14, s1
	s_delay_alu instid0(VALU_DEP_1) | instskip(NEXT) | instid1(VALU_DEP_1)
	v_add_co_u32 v15, s1, v14, v32
	v_add_co_ci_u32_e64 v17, null, 0, 0, s1
	v_mul_lo_u32 v34, v14, s17
	s_delay_alu instid0(VALU_DEP_3) | instskip(NEXT) | instid1(VALU_DEP_1)
	v_mad_u64_u32 v[12:13], null, v15, s5, 0
	v_mad_u64_u32 v[14:15], null, v17, s5, v[13:14]
	s_delay_alu instid0(VALU_DEP_3) | instskip(NEXT) | instid1(VALU_DEP_1)
	v_sub_nc_u32_e32 v13, v16, v34
	v_cmp_eq_u32_e64 s1, 0, v13
	s_delay_alu instid0(VALU_DEP_3)
	v_mov_b32_e32 v34, v14
	v_dual_mov_b32 v14, v1 :: v_dual_mov_b32 v13, v0
	s_branch .LBB2_18
.LBB2_16:                               ;   in Loop: Header=BB2_18 Depth=3
	s_or_b32 exec_lo, exec_lo, s44
.LBB2_17:                               ;   in Loop: Header=BB2_18 Depth=3
	s_delay_alu instid0(SALU_CYCLE_1) | instskip(SKIP_1) | instid1(VALU_DEP_1)
	s_or_b32 exec_lo, exec_lo, s43
	v_add_co_u32 v13, s2, v13, 1
	v_add_co_ci_u32_e64 v14, s2, 0, v14, s2
	s_delay_alu instid0(VALU_DEP_2) | instskip(NEXT) | instid1(VALU_DEP_1)
	v_cmp_ge_u32_e64 s2, v13, v30
	s_or_b32 s42, s2, s42
	s_delay_alu instid0(SALU_CYCLE_1)
	s_and_not1_b32 exec_lo, exec_lo, s42
	s_cbranch_execz .LBB2_12
.LBB2_18:                               ;   Parent Loop BB2_4 Depth=1
                                        ;     Parent Loop BB2_14 Depth=2
                                        ; =>    This Loop Header: Depth=3
                                        ;         Child Loop BB2_23 Depth 4
	s_and_saveexec_b32 s43, s0
	s_cbranch_execz .LBB2_17
; %bb.19:                               ;   in Loop: Header=BB2_18 Depth=3
	s_delay_alu instid0(VALU_DEP_1) | instskip(SKIP_1) | instid1(VALU_DEP_1)
	v_mul_lo_u32 v15, v13, s15
	s_mov_b32 s44, 0
	v_sub_nc_u32_e32 v17, v3, v15
	s_delay_alu instid0(VALU_DEP_1) | instskip(NEXT) | instid1(VALU_DEP_1)
	v_mul_hi_u32 v15, v17, v26
	v_mul_lo_u32 v16, v15, s18
	v_add_nc_u32_e32 v35, 1, v15
	s_delay_alu instid0(VALU_DEP_2) | instskip(NEXT) | instid1(VALU_DEP_1)
	v_sub_nc_u32_e32 v16, v17, v16
	v_subrev_nc_u32_e32 v36, s18, v16
	v_cmp_le_u32_e64 s2, s18, v16
	s_delay_alu instid0(VALU_DEP_1) | instskip(NEXT) | instid1(VALU_DEP_3)
	v_cndmask_b32_e64 v15, v15, v35, s2
	v_cndmask_b32_e64 v16, v16, v36, s2
	s_delay_alu instid0(VALU_DEP_2) | instskip(NEXT) | instid1(VALU_DEP_2)
	v_add_nc_u32_e32 v35, 1, v15
	v_cmp_le_u32_e64 s2, s18, v16
	s_delay_alu instid0(VALU_DEP_1) | instskip(NEXT) | instid1(VALU_DEP_1)
	v_cndmask_b32_e64 v35, v15, v35, s2
	v_add_co_u32 v36, s2, v12, v35
	v_mul_lo_u32 v35, v35, s18
	v_add_co_ci_u32_e64 v38, s2, 0, v34, s2
	s_delay_alu instid0(VALU_DEP_3) | instskip(NEXT) | instid1(VALU_DEP_1)
	v_mad_u64_u32 v[15:16], null, v36, s10, 0
	v_mad_u64_u32 v[36:37], null, v38, s10, v[16:17]
	s_delay_alu instid0(VALU_DEP_4) | instskip(SKIP_2) | instid1(VALU_DEP_3)
	v_sub_nc_u32_e32 v37, v17, v35
	v_dual_mov_b32 v17, v11 :: v_dual_mov_b32 v16, v10
	v_mov_b32_e32 v35, v33
	v_cmp_eq_u32_e64 s2, 0, v37
	v_mov_b32_e32 v37, v6
	s_branch .LBB2_23
.LBB2_20:                               ;   in Loop: Header=BB2_23 Depth=4
	s_or_b32 exec_lo, exec_lo, s46
.LBB2_21:                               ;   in Loop: Header=BB2_23 Depth=4
	s_delay_alu instid0(SALU_CYCLE_1)
	s_or_b32 exec_lo, exec_lo, s45
.LBB2_22:                               ;   in Loop: Header=BB2_23 Depth=4
	s_delay_alu instid0(SALU_CYCLE_1) | instskip(SKIP_2) | instid1(VALU_DEP_1)
	s_or_b32 exec_lo, exec_lo, s4
	v_add_nc_u32_e32 v37, 1, v37
	v_add_co_u32 v16, s4, v16, 2
	v_add_co_ci_u32_e64 v17, s4, 0, v17, s4
	s_delay_alu instid0(VALU_DEP_3) | instskip(SKIP_1) | instid1(VALU_DEP_2)
	v_cmp_ge_u32_e64 s3, v37, v31
	v_subrev_nc_u32_e32 v35, s16, v35
	s_or_b32 s44, s3, s44
	s_delay_alu instid0(SALU_CYCLE_1)
	s_and_not1_b32 exec_lo, exec_lo, s44
	s_cbranch_execz .LBB2_16
.LBB2_23:                               ;   Parent Loop BB2_4 Depth=1
                                        ;     Parent Loop BB2_14 Depth=2
                                        ;       Parent Loop BB2_18 Depth=3
                                        ; =>      This Inner Loop Header: Depth=4
	s_and_saveexec_b32 s4, s1
	s_cbranch_execz .LBB2_22
; %bb.24:                               ;   in Loop: Header=BB2_23 Depth=4
	s_and_saveexec_b32 s45, s2
	s_cbranch_execz .LBB2_21
; %bb.25:                               ;   in Loop: Header=BB2_23 Depth=4
	v_mul_hi_u32 v38, v35, v27
	s_mov_b32 s46, exec_lo
	s_delay_alu instid0(VALU_DEP_1) | instskip(SKIP_1) | instid1(VALU_DEP_2)
	v_mul_lo_u32 v39, v38, s19
	v_add_nc_u32_e32 v40, 1, v38
	v_sub_nc_u32_e32 v39, v35, v39
	s_delay_alu instid0(VALU_DEP_1) | instskip(SKIP_1) | instid1(VALU_DEP_1)
	v_subrev_nc_u32_e32 v41, s19, v39
	v_cmp_le_u32_e64 s3, s19, v39
	v_cndmask_b32_e64 v38, v38, v40, s3
	s_delay_alu instid0(VALU_DEP_3) | instskip(NEXT) | instid1(VALU_DEP_2)
	v_cndmask_b32_e64 v39, v39, v41, s3
	v_add_nc_u32_e32 v40, 1, v38
	s_delay_alu instid0(VALU_DEP_2) | instskip(NEXT) | instid1(VALU_DEP_1)
	v_cmp_le_u32_e64 s3, s19, v39
	v_cndmask_b32_e64 v38, v38, v40, s3
	s_delay_alu instid0(VALU_DEP_1) | instskip(NEXT) | instid1(VALU_DEP_1)
	v_mul_lo_u32 v39, v38, s19
	v_sub_nc_u32_e32 v39, v35, v39
	s_delay_alu instid0(VALU_DEP_1)
	v_cmpx_eq_u32_e32 0, v39
	s_cbranch_execz .LBB2_20
; %bb.26:                               ;   in Loop: Header=BB2_23 Depth=4
	v_add_co_u32 v40, s3, v15, v38
	s_delay_alu instid0(VALU_DEP_1) | instskip(NEXT) | instid1(VALU_DEP_2)
	v_add_co_ci_u32_e64 v44, s3, 0, v36, s3
	v_mad_u64_u32 v[38:39], null, v40, s20, v[8:9]
	s_delay_alu instid0(VALU_DEP_1) | instskip(NEXT) | instid1(VALU_DEP_1)
	v_mad_u64_u32 v[40:41], null, s37, v38, v[13:14]
	v_mad_u64_u32 v[42:43], null, v44, s20, v[39:40]
	s_delay_alu instid0(VALU_DEP_2) | instskip(SKIP_1) | instid1(VALU_DEP_2)
	v_mov_b32_e32 v38, v41
	v_mul_lo_u32 v41, s35, v40
	v_mad_u64_u32 v[43:44], null, s37, v42, v[38:39]
	v_mad_u64_u32 v[38:39], null, s34, v40, v[16:17]
	s_delay_alu instid0(VALU_DEP_2) | instskip(NEXT) | instid1(VALU_DEP_1)
	v_mul_lo_u32 v42, s34, v43
	v_add3_u32 v39, v41, v39, v42
	global_load_u16 v38, v[38:39], off
	s_waitcnt vmcnt(0)
	v_cvt_f32_f16_e32 v38, v38
	s_delay_alu instid0(VALU_DEP_1)
	v_add_f32_e32 v7, v7, v38
	s_branch .LBB2_20
.LBB2_27:
	s_nop 0
	s_sendmsg sendmsg(MSG_DEALLOC_VGPRS)
	s_endpgm
	.section	.rodata,"a",@progbits
	.p2align	6, 0x0
	.amdhsa_kernel _ZN2at6native13vol2im_kernelIN3c104HalfEfEEvlPKT_jjjjjjjjjjjjjjjjjjjPS4_
		.amdhsa_group_segment_fixed_size 0
		.amdhsa_private_segment_fixed_size 0
		.amdhsa_kernarg_size 360
		.amdhsa_user_sgpr_count 15
		.amdhsa_user_sgpr_dispatch_ptr 0
		.amdhsa_user_sgpr_queue_ptr 0
		.amdhsa_user_sgpr_kernarg_segment_ptr 1
		.amdhsa_user_sgpr_dispatch_id 0
		.amdhsa_user_sgpr_private_segment_size 0
		.amdhsa_wavefront_size32 1
		.amdhsa_uses_dynamic_stack 0
		.amdhsa_enable_private_segment 0
		.amdhsa_system_sgpr_workgroup_id_x 1
		.amdhsa_system_sgpr_workgroup_id_y 0
		.amdhsa_system_sgpr_workgroup_id_z 0
		.amdhsa_system_sgpr_workgroup_info 0
		.amdhsa_system_vgpr_workitem_id 0
		.amdhsa_next_free_vgpr 45
		.amdhsa_next_free_sgpr 47
		.amdhsa_reserve_vcc 1
		.amdhsa_float_round_mode_32 0
		.amdhsa_float_round_mode_16_64 0
		.amdhsa_float_denorm_mode_32 3
		.amdhsa_float_denorm_mode_16_64 3
		.amdhsa_dx10_clamp 1
		.amdhsa_ieee_mode 1
		.amdhsa_fp16_overflow 0
		.amdhsa_workgroup_processor_mode 1
		.amdhsa_memory_ordered 1
		.amdhsa_forward_progress 0
		.amdhsa_shared_vgpr_count 0
		.amdhsa_exception_fp_ieee_invalid_op 0
		.amdhsa_exception_fp_denorm_src 0
		.amdhsa_exception_fp_ieee_div_zero 0
		.amdhsa_exception_fp_ieee_overflow 0
		.amdhsa_exception_fp_ieee_underflow 0
		.amdhsa_exception_fp_ieee_inexact 0
		.amdhsa_exception_int_div_zero 0
	.end_amdhsa_kernel
	.section	.text._ZN2at6native13vol2im_kernelIN3c104HalfEfEEvlPKT_jjjjjjjjjjjjjjjjjjjPS4_,"axG",@progbits,_ZN2at6native13vol2im_kernelIN3c104HalfEfEEvlPKT_jjjjjjjjjjjjjjjjjjjPS4_,comdat
.Lfunc_end2:
	.size	_ZN2at6native13vol2im_kernelIN3c104HalfEfEEvlPKT_jjjjjjjjjjjjjjjjjjjPS4_, .Lfunc_end2-_ZN2at6native13vol2im_kernelIN3c104HalfEfEEvlPKT_jjjjjjjjjjjjjjjjjjjPS4_
                                        ; -- End function
	.section	.AMDGPU.csdata,"",@progbits
; Kernel info:
; codeLenInByte = 2580
; NumSgprs: 49
; NumVgprs: 45
; ScratchSize: 0
; MemoryBound: 0
; FloatMode: 240
; IeeeMode: 1
; LDSByteSize: 0 bytes/workgroup (compile time only)
; SGPRBlocks: 6
; VGPRBlocks: 5
; NumSGPRsForWavesPerEU: 49
; NumVGPRsForWavesPerEU: 45
; Occupancy: 16
; WaveLimiterHint : 0
; COMPUTE_PGM_RSRC2:SCRATCH_EN: 0
; COMPUTE_PGM_RSRC2:USER_SGPR: 15
; COMPUTE_PGM_RSRC2:TRAP_HANDLER: 0
; COMPUTE_PGM_RSRC2:TGID_X_EN: 1
; COMPUTE_PGM_RSRC2:TGID_Y_EN: 0
; COMPUTE_PGM_RSRC2:TGID_Z_EN: 0
; COMPUTE_PGM_RSRC2:TIDIG_COMP_CNT: 0
	.section	.text._ZN2at6native13vol2im_kernelIN3c108BFloat16EfEEvlPKT_jjjjjjjjjjjjjjjjjjjPS4_,"axG",@progbits,_ZN2at6native13vol2im_kernelIN3c108BFloat16EfEEvlPKT_jjjjjjjjjjjjjjjjjjjPS4_,comdat
	.protected	_ZN2at6native13vol2im_kernelIN3c108BFloat16EfEEvlPKT_jjjjjjjjjjjjjjjjjjjPS4_ ; -- Begin function _ZN2at6native13vol2im_kernelIN3c108BFloat16EfEEvlPKT_jjjjjjjjjjjjjjjjjjjPS4_
	.globl	_ZN2at6native13vol2im_kernelIN3c108BFloat16EfEEvlPKT_jjjjjjjjjjjjjjjjjjjPS4_
	.p2align	8
	.type	_ZN2at6native13vol2im_kernelIN3c108BFloat16EfEEvlPKT_jjjjjjjjjjjjjjjjjjjPS4_,@function
_ZN2at6native13vol2im_kernelIN3c108BFloat16EfEEvlPKT_jjjjjjjjjjjjjjjjjjjPS4_: ; @_ZN2at6native13vol2im_kernelIN3c108BFloat16EfEEvlPKT_jjjjjjjjjjjjjjjjjjjPS4_
; %bb.0:
	s_clause 0x1
	s_load_b32 s4, s[0:1], 0x74
	s_load_b128 s[24:27], s[0:1], 0x0
	v_mov_b32_e32 v2, 0
	s_add_u32 s2, s0, 0x68
	s_addc_u32 s3, s1, 0
	s_mov_b32 s5, exec_lo
	s_delay_alu instid0(VALU_DEP_1)
	v_mov_b32_e32 v1, v2
	s_waitcnt lgkmcnt(0)
	s_and_b32 s4, s4, 0xffff
	s_delay_alu instid0(VALU_DEP_1) | instid1(SALU_CYCLE_1)
	v_mad_u64_u32 v[4:5], null, s4, s15, v[0:1]
	s_delay_alu instid0(VALU_DEP_1)
	v_cmpx_gt_i64_e64 s[24:25], v[4:5]
	s_cbranch_execz .LBB3_27
; %bb.1:
	s_clause 0x3
	s_load_b128 s[28:31], s[0:1], 0x10
	s_load_b256 s[8:15], s[0:1], 0x20
	s_load_b256 s[16:23], s[0:1], 0x40
	s_load_b64 s[6:7], s[0:1], 0x60
	s_load_b32 s0, s[2:3], 0x0
	s_waitcnt lgkmcnt(0)
	s_mov_b32 s23, 0
	v_cvt_f32_u32_e32 v0, s30
	v_cvt_f32_u32_e32 v1, s29
	s_mul_i32 s1, s29, s30
	s_add_i32 s3, s9, -1
	s_mov_b32 s5, s9
	v_rcp_iflag_f32_e32 v0, v0
	v_rcp_iflag_f32_e32 v1, v1
	s_mul_i32 s9, s1, s28
	s_sub_i32 s34, 0, s30
	v_cvt_f32_u32_e32 v12, s9
	s_sub_i32 s35, 0, s29
	v_cvt_f32_u32_e32 v3, s28
	v_cvt_f32_u32_e32 v6, s16
	;; [unrolled: 1-line block ×4, first 2 shown]
	s_waitcnt_depctr 0xfff
	v_dual_mul_f32 v0, 0x4f7ffffe, v0 :: v_dual_mul_f32 v1, 0x4f7ffffe, v1
	v_rcp_iflag_f32_e32 v12, v12
	v_cvt_f32_u32_e32 v9, s17
	v_rcp_iflag_f32_e32 v3, v3
	s_delay_alu instid0(VALU_DEP_2)
	v_cvt_u32_f32_e32 v0, v0
	v_cvt_u32_f32_e32 v1, v1
	v_rcp_iflag_f32_e32 v6, v6
	v_cvt_f32_u32_e32 v10, s18
	v_cvt_f32_u32_e32 v11, s19
	v_mul_lo_u32 v13, s34, v0
	v_mul_lo_u32 v14, s35, v1
	v_rcp_iflag_f32_e32 v8, v8
	v_rcp_iflag_f32_e32 v7, v7
	;; [unrolled: 1-line block ×5, first 2 shown]
	v_mul_f32_e32 v12, 0x4f7ffffe, v12
	v_mul_hi_u32 v13, v0, v13
	v_mul_hi_u32 v14, v1, v14
	v_dual_mul_f32 v3, 0x4f7ffffe, v3 :: v_dual_mul_f32 v6, 0x4f7ffffe, v6
	s_add_i32 s2, s10, -1
	v_mul_f32_e32 v7, 0x4f7ffffe, v7
	v_cvt_u32_f32_e32 v12, v12
	s_add_i32 s31, s8, -1
	s_delay_alu instid0(TRANS32_DEP_1)
	v_dual_mul_f32 v11, 0x4f7ffffe, v11 :: v_dual_add_nc_u32 v18, v0, v13
	v_dual_mul_f32 v0, 0x4f7ffffe, v8 :: v_dual_add_nc_u32 v19, v1, v14
	s_mul_i32 s1, s2, s19
	v_dual_mul_f32 v9, 0x4f7ffffe, v9 :: v_dual_mul_f32 v10, 0x4f7ffffe, v10
	v_cvt_u32_f32_e32 v6, v6
	s_mul_i32 s36, s31, s17
	s_add_i32 s31, s1, 1
	s_sub_i32 s1, 0, s9
	v_cvt_u32_f32_e32 v0, v0
	v_mul_lo_u32 v16, s1, v12
	s_sub_i32 s1, 0, s16
	v_cvt_u32_f32_e32 v7, v7
	v_cvt_u32_f32_e32 v9, v9
	v_mul_lo_u32 v1, s1, v6
	s_sub_i32 s1, 0, s14
	v_cvt_u32_f32_e32 v3, v3
	v_cvt_u32_f32_e32 v10, v10
	;; [unrolled: 1-line block ×3, first 2 shown]
	s_sub_i32 s2, 0, s15
	v_mul_lo_u32 v13, s1, v0
	s_sub_i32 s1, 0, s17
	s_sub_i32 s37, 0, s28
	v_mul_lo_u32 v8, s2, v7
	v_mul_lo_u32 v14, s1, v9
	s_sub_i32 s1, 0, s18
	s_sub_i32 s2, 0, s19
	v_mul_lo_u32 v15, s37, v3
	v_mul_lo_u32 v17, s1, v10
	;; [unrolled: 1-line block ×3, first 2 shown]
	v_mul_hi_u32 v16, v12, v16
	v_mul_hi_u32 v1, v6, v1
	;; [unrolled: 1-line block ×8, first 2 shown]
	v_add_nc_u32_e32 v21, v12, v16
	v_add_nc_u32_e32 v22, v6, v1
	;; [unrolled: 1-line block ×8, first 2 shown]
	s_mul_i32 s33, s3, s18
	s_add_i32 s36, s36, 1
	s_add_i32 s33, s33, 1
	s_mov_b32 s37, s21
	s_mul_i32 s38, s0, s4
	s_lshl_b64 s[34:35], s[22:23], 1
	s_branch .LBB3_4
.LBB3_2:                                ;   in Loop: Header=BB3_4 Depth=1
	s_or_b32 exec_lo, exec_lo, s40
.LBB3_3:                                ;   in Loop: Header=BB3_4 Depth=1
	s_delay_alu instid0(SALU_CYCLE_1) | instskip(SKIP_4) | instid1(VALU_DEP_4)
	s_or_b32 exec_lo, exec_lo, s39
	v_bfe_u32 v0, v7, 16, 1
	v_mov_b32_e32 v3, v4
	v_add_co_u32 v4, vcc_lo, v4, s38
	v_add_co_ci_u32_e32 v5, vcc_lo, 0, v5, vcc_lo
	v_add3_u32 v0, v7, v0, 0x7fff
	v_cmp_o_f32_e64 s0, v7, v7
	s_delay_alu instid0(VALU_DEP_3) | instskip(NEXT) | instid1(VALU_DEP_3)
	v_cmp_le_i64_e32 vcc_lo, s[24:25], v[4:5]
	v_lshrrev_b32_e32 v6, 16, v0
	v_ashrrev_i64 v[0:1], 31, v[2:3]
	s_or_b32 s23, vcc_lo, s23
	s_delay_alu instid0(VALU_DEP_2) | instskip(NEXT) | instid1(VALU_DEP_2)
	v_cndmask_b32_e64 v3, 0x7fc0, v6, s0
	v_add_co_u32 v0, s0, s6, v0
	s_delay_alu instid0(VALU_DEP_1)
	v_add_co_ci_u32_e64 v1, s0, s7, v1, s0
	global_store_b16 v[0:1], v3, off
	s_and_not1_b32 exec_lo, exec_lo, s23
	s_cbranch_execz .LBB3_27
.LBB3_4:                                ; =>This Loop Header: Depth=1
                                        ;     Child Loop BB3_14 Depth 2
                                        ;       Child Loop BB3_18 Depth 3
                                        ;         Child Loop BB3_23 Depth 4
	v_mul_hi_u32 v0, v4, v18
	s_mov_b32 s0, exec_lo
	s_delay_alu instid0(VALU_DEP_1) | instskip(SKIP_1) | instid1(VALU_DEP_2)
	v_mul_lo_u32 v1, v0, s30
	v_add_nc_u32_e32 v3, 1, v0
	v_sub_nc_u32_e32 v1, v4, v1
	s_delay_alu instid0(VALU_DEP_1) | instskip(SKIP_1) | instid1(VALU_DEP_2)
	v_subrev_nc_u32_e32 v6, s30, v1
	v_cmp_le_u32_e32 vcc_lo, s30, v1
	v_dual_cndmask_b32 v0, v0, v3 :: v_dual_cndmask_b32 v1, v1, v6
	s_delay_alu instid0(VALU_DEP_1) | instskip(NEXT) | instid1(VALU_DEP_2)
	v_dual_mov_b32 v6, 0 :: v_dual_add_nc_u32 v3, 1, v0
	v_cmp_le_u32_e32 vcc_lo, s30, v1
	s_delay_alu instid0(VALU_DEP_2) | instskip(NEXT) | instid1(VALU_DEP_1)
	v_cndmask_b32_e32 v1, v0, v3, vcc_lo
	v_mul_lo_u32 v12, v1, s30
	s_delay_alu instid0(VALU_DEP_1) | instskip(NEXT) | instid1(VALU_DEP_1)
	v_sub_nc_u32_e32 v0, v4, v12
	v_add_nc_u32_e32 v10, s13, v0
	v_mov_b32_e32 v0, 0
	s_delay_alu instid0(VALU_DEP_2)
	v_cmpx_le_u32_e64 s31, v10
	s_cbranch_execz .LBB3_6
; %bb.5:                                ;   in Loop: Header=BB3_4 Depth=1
	v_subrev_nc_u32_e32 v3, s31, v10
	s_delay_alu instid0(VALU_DEP_1) | instskip(NEXT) | instid1(VALU_DEP_1)
	v_mul_hi_u32 v6, v3, v22
	v_mul_lo_u32 v7, v6, s16
	s_delay_alu instid0(VALU_DEP_1) | instskip(SKIP_1) | instid1(VALU_DEP_2)
	v_sub_nc_u32_e32 v3, v3, v7
	v_add_nc_u32_e32 v7, 1, v6
	v_subrev_nc_u32_e32 v8, s16, v3
	v_cmp_le_u32_e32 vcc_lo, s16, v3
	s_delay_alu instid0(VALU_DEP_2) | instskip(NEXT) | instid1(VALU_DEP_1)
	v_dual_cndmask_b32 v6, v6, v7 :: v_dual_cndmask_b32 v3, v3, v8
	v_add_nc_u32_e32 v7, 1, v6
	s_delay_alu instid0(VALU_DEP_2) | instskip(NEXT) | instid1(VALU_DEP_2)
	v_cmp_le_u32_e32 vcc_lo, s16, v3
	v_cndmask_b32_e32 v3, v6, v7, vcc_lo
	s_delay_alu instid0(VALU_DEP_1)
	v_add_nc_u32_e32 v6, 1, v3
.LBB3_6:                                ;   in Loop: Header=BB3_4 Depth=1
	s_or_b32 exec_lo, exec_lo, s0
	v_mul_hi_u32 v3, v1, v19
	s_mov_b32 s0, exec_lo
	s_delay_alu instid0(VALU_DEP_1) | instskip(NEXT) | instid1(VALU_DEP_1)
	v_mul_lo_u32 v7, v3, s29
	v_sub_nc_u32_e32 v7, v1, v7
	s_delay_alu instid0(VALU_DEP_1) | instskip(SKIP_1) | instid1(VALU_DEP_2)
	v_subrev_nc_u32_e32 v9, s29, v7
	v_cmp_le_u32_e32 vcc_lo, s29, v7
	v_dual_cndmask_b32 v7, v7, v9 :: v_dual_add_nc_u32 v8, 1, v3
	s_delay_alu instid0(VALU_DEP_1) | instskip(NEXT) | instid1(VALU_DEP_2)
	v_cndmask_b32_e32 v3, v3, v8, vcc_lo
	v_cmp_le_u32_e32 vcc_lo, s29, v7
	s_delay_alu instid0(VALU_DEP_2) | instskip(NEXT) | instid1(VALU_DEP_1)
	v_add_nc_u32_e32 v8, 1, v3
	v_cndmask_b32_e32 v7, v3, v8, vcc_lo
	s_delay_alu instid0(VALU_DEP_1) | instskip(NEXT) | instid1(VALU_DEP_1)
	v_mul_lo_u32 v3, v7, s29
	v_sub_nc_u32_e32 v1, v1, v3
	s_delay_alu instid0(VALU_DEP_1) | instskip(NEXT) | instid1(VALU_DEP_1)
	v_add_nc_u32_e32 v3, s12, v1
	v_cmpx_le_u32_e64 s33, v3
	s_cbranch_execz .LBB3_8
; %bb.7:                                ;   in Loop: Header=BB3_4 Depth=1
	v_subrev_nc_u32_e32 v0, s33, v3
	s_delay_alu instid0(VALU_DEP_1) | instskip(NEXT) | instid1(VALU_DEP_1)
	v_mul_hi_u32 v1, v0, v23
	v_mul_lo_u32 v8, v1, s15
	s_delay_alu instid0(VALU_DEP_1) | instskip(SKIP_1) | instid1(VALU_DEP_2)
	v_sub_nc_u32_e32 v0, v0, v8
	v_add_nc_u32_e32 v8, 1, v1
	v_subrev_nc_u32_e32 v9, s15, v0
	v_cmp_le_u32_e32 vcc_lo, s15, v0
	s_delay_alu instid0(VALU_DEP_2) | instskip(NEXT) | instid1(VALU_DEP_1)
	v_dual_cndmask_b32 v1, v1, v8 :: v_dual_cndmask_b32 v0, v0, v9
	v_add_nc_u32_e32 v8, 1, v1
	s_delay_alu instid0(VALU_DEP_2) | instskip(NEXT) | instid1(VALU_DEP_2)
	v_cmp_le_u32_e32 vcc_lo, s15, v0
	v_cndmask_b32_e32 v0, v1, v8, vcc_lo
	s_delay_alu instid0(VALU_DEP_1)
	v_add_nc_u32_e32 v0, 1, v0
.LBB3_8:                                ;   in Loop: Header=BB3_4 Depth=1
	s_or_b32 exec_lo, exec_lo, s0
	v_mul_hi_u32 v1, v7, v20
	s_mov_b32 s0, exec_lo
	v_mov_b32_e32 v8, 0
	s_delay_alu instid0(VALU_DEP_2) | instskip(NEXT) | instid1(VALU_DEP_1)
	v_mul_lo_u32 v1, v1, s28
	v_sub_nc_u32_e32 v1, v7, v1
	s_delay_alu instid0(VALU_DEP_1) | instskip(SKIP_1) | instid1(VALU_DEP_2)
	v_subrev_nc_u32_e32 v7, s28, v1
	v_cmp_le_u32_e32 vcc_lo, s28, v1
	v_cndmask_b32_e32 v1, v1, v7, vcc_lo
	s_delay_alu instid0(VALU_DEP_1) | instskip(SKIP_1) | instid1(VALU_DEP_2)
	v_subrev_nc_u32_e32 v7, s28, v1
	v_cmp_le_u32_e32 vcc_lo, s28, v1
	v_cndmask_b32_e32 v1, v1, v7, vcc_lo
	s_delay_alu instid0(VALU_DEP_1) | instskip(NEXT) | instid1(VALU_DEP_1)
	v_dual_mov_b32 v7, 0 :: v_dual_add_nc_u32 v28, s11, v1
	v_cmpx_le_u32_e64 s36, v28
	s_cbranch_execz .LBB3_10
; %bb.9:                                ;   in Loop: Header=BB3_4 Depth=1
	v_subrev_nc_u32_e32 v1, s36, v28
	s_delay_alu instid0(VALU_DEP_1) | instskip(NEXT) | instid1(VALU_DEP_1)
	v_mul_hi_u32 v8, v1, v24
	v_mul_lo_u32 v9, v8, s14
	s_delay_alu instid0(VALU_DEP_1) | instskip(SKIP_1) | instid1(VALU_DEP_2)
	v_sub_nc_u32_e32 v1, v1, v9
	v_add_nc_u32_e32 v9, 1, v8
	v_subrev_nc_u32_e32 v11, s14, v1
	v_cmp_le_u32_e32 vcc_lo, s14, v1
	s_delay_alu instid0(VALU_DEP_2) | instskip(NEXT) | instid1(VALU_DEP_1)
	v_dual_cndmask_b32 v8, v8, v9 :: v_dual_cndmask_b32 v1, v1, v11
	v_add_nc_u32_e32 v9, 1, v8
	s_delay_alu instid0(VALU_DEP_2) | instskip(NEXT) | instid1(VALU_DEP_2)
	v_cmp_le_u32_e32 vcc_lo, s14, v1
	v_cndmask_b32_e32 v1, v8, v9, vcc_lo
	s_delay_alu instid0(VALU_DEP_1)
	v_add_nc_u32_e32 v8, 1, v1
.LBB3_10:                               ;   in Loop: Header=BB3_4 Depth=1
	s_or_b32 exec_lo, exec_lo, s0
	v_mul_hi_u32 v1, v28, v24
	s_mov_b32 s39, exec_lo
	s_delay_alu instid0(VALU_DEP_1) | instskip(SKIP_1) | instid1(VALU_DEP_2)
	v_mul_lo_u32 v9, v1, s14
	v_add_nc_u32_e32 v11, 1, v1
	v_sub_nc_u32_e32 v9, v28, v9
	s_delay_alu instid0(VALU_DEP_1) | instskip(SKIP_1) | instid1(VALU_DEP_4)
	v_subrev_nc_u32_e32 v13, s14, v9
	v_cmp_le_u32_e32 vcc_lo, s14, v9
	v_cndmask_b32_e32 v1, v1, v11, vcc_lo
	s_delay_alu instid0(VALU_DEP_3) | instskip(NEXT) | instid1(VALU_DEP_2)
	v_cndmask_b32_e32 v9, v9, v13, vcc_lo
	v_add_nc_u32_e32 v11, 1, v1
	s_delay_alu instid0(VALU_DEP_2) | instskip(NEXT) | instid1(VALU_DEP_2)
	v_cmp_le_u32_e32 vcc_lo, s14, v9
	v_cndmask_b32_e32 v1, v1, v11, vcc_lo
	s_delay_alu instid0(VALU_DEP_1) | instskip(NEXT) | instid1(VALU_DEP_1)
	v_add_nc_u32_e32 v1, 1, v1
	v_min_u32_e32 v29, s20, v1
	s_delay_alu instid0(VALU_DEP_1)
	v_cmpx_lt_u32_e64 v8, v29
	s_cbranch_execz .LBB3_3
; %bb.11:                               ;   in Loop: Header=BB3_4 Depth=1
	v_mul_hi_u32 v11, v3, v23
	v_mul_hi_u32 v13, v10, v22
	;; [unrolled: 1-line block ×3, first 2 shown]
	v_mov_b32_e32 v1, v2
	v_mov_b32_e32 v9, v2
	s_mov_b32 s40, 0
	v_mul_lo_u32 v15, v11, s15
	v_mul_lo_u32 v16, v13, s16
	v_add_nc_u32_e32 v32, 1, v14
	v_mul_lo_u32 v17, v14, s9
	v_add_nc_u32_e32 v30, 1, v11
	v_sub_nc_u32_e32 v15, v3, v15
	v_sub_nc_u32_e32 v10, v10, v16
	s_delay_alu instid0(VALU_DEP_4) | instskip(NEXT) | instid1(VALU_DEP_3)
	v_sub_nc_u32_e32 v16, v4, v17
	v_cmp_le_u32_e32 vcc_lo, s15, v15
	v_subrev_nc_u32_e32 v17, s15, v15
	s_delay_alu instid0(VALU_DEP_4) | instskip(NEXT) | instid1(VALU_DEP_4)
	v_cmp_le_u32_e64 s0, s16, v10
	v_cmp_le_u32_e64 s1, s9, v16
	s_delay_alu instid0(VALU_DEP_1) | instskip(SKIP_3) | instid1(VALU_DEP_3)
	v_cndmask_b32_e64 v14, v14, v32, s1
	v_cndmask_b32_e32 v11, v11, v30, vcc_lo
	v_subrev_nc_u32_e32 v30, s16, v10
	v_cndmask_b32_e32 v15, v15, v17, vcc_lo
	v_add_nc_u32_e32 v17, 1, v11
	s_delay_alu instid0(VALU_DEP_3) | instskip(NEXT) | instid1(VALU_DEP_3)
	v_cndmask_b32_e64 v10, v10, v30, s0
	v_cmp_le_u32_e32 vcc_lo, s15, v15
	s_delay_alu instid0(VALU_DEP_3) | instskip(NEXT) | instid1(VALU_DEP_3)
	v_cndmask_b32_e32 v11, v11, v17, vcc_lo
	v_cmp_le_u32_e32 vcc_lo, s16, v10
	v_add_nc_u32_e32 v31, 1, v13
	v_add_nc_u32_e32 v17, s13, v4
	s_delay_alu instid0(VALU_DEP_2) | instskip(SKIP_2) | instid1(VALU_DEP_3)
	v_cndmask_b32_e64 v13, v13, v31, s0
	v_mov_b32_e32 v7, v2
	v_subrev_nc_u32_e32 v31, s9, v16
	v_add_nc_u32_e32 v30, 1, v13
	s_delay_alu instid0(VALU_DEP_2) | instskip(SKIP_1) | instid1(VALU_DEP_3)
	v_cndmask_b32_e64 v15, v16, v31, s1
	v_add_nc_u32_e32 v16, 1, v14
	v_cndmask_b32_e32 v10, v13, v30, vcc_lo
	v_mul_lo_u32 v13, s16, v6
	s_delay_alu instid0(VALU_DEP_4) | instskip(NEXT) | instid1(VALU_DEP_3)
	v_cmp_le_u32_e32 vcc_lo, s9, v15
	v_add_nc_u32_e32 v10, 1, v10
	v_dual_cndmask_b32 v14, v14, v16 :: v_dual_add_nc_u32 v11, 1, v11
	s_delay_alu instid0(VALU_DEP_2) | instskip(NEXT) | instid1(VALU_DEP_2)
	v_min_u32_e32 v31, s22, v10
	v_min_u32_e32 v30, s21, v11
	v_lshlrev_b64 v[10:11], 1, v[6:7]
	v_sub_nc_u32_e32 v7, v17, v13
	v_mul_lo_u32 v32, v14, s8
	v_cmp_lt_u32_e64 s0, v6, v31
	v_cmp_lt_u32_e32 vcc_lo, v0, v30
	v_add_co_u32 v10, s1, s26, v10
	s_delay_alu instid0(VALU_DEP_1)
	v_add_co_ci_u32_e64 v11, s1, s27, v11, s1
	v_sub_nc_u32_e32 v33, v7, v12
	v_mov_b32_e32 v7, 0
	s_branch .LBB3_14
.LBB3_12:                               ;   in Loop: Header=BB3_14 Depth=2
	s_or_b32 exec_lo, exec_lo, s42
.LBB3_13:                               ;   in Loop: Header=BB3_14 Depth=2
	s_delay_alu instid0(SALU_CYCLE_1) | instskip(SKIP_1) | instid1(VALU_DEP_1)
	s_or_b32 exec_lo, exec_lo, s41
	v_add_co_u32 v8, s1, v8, 1
	v_add_co_ci_u32_e64 v9, s1, 0, v9, s1
	s_delay_alu instid0(VALU_DEP_2) | instskip(NEXT) | instid1(VALU_DEP_1)
	v_cmp_ge_u32_e64 s1, v8, v29
	s_or_b32 s40, s1, s40
	s_delay_alu instid0(SALU_CYCLE_1)
	s_and_not1_b32 exec_lo, exec_lo, s40
	s_cbranch_execz .LBB3_2
.LBB3_14:                               ;   Parent Loop BB3_4 Depth=1
                                        ; =>  This Loop Header: Depth=2
                                        ;       Child Loop BB3_18 Depth 3
                                        ;         Child Loop BB3_23 Depth 4
	s_and_saveexec_b32 s41, vcc_lo
	s_cbranch_execz .LBB3_13
; %bb.15:                               ;   in Loop: Header=BB3_14 Depth=2
	v_mul_lo_u32 v12, v8, s14
	s_mov_b32 s42, 0
	s_delay_alu instid0(VALU_DEP_1) | instskip(NEXT) | instid1(VALU_DEP_1)
	v_sub_nc_u32_e32 v16, v28, v12
	v_mul_hi_u32 v12, v16, v25
	s_delay_alu instid0(VALU_DEP_1) | instskip(SKIP_1) | instid1(VALU_DEP_2)
	v_mul_lo_u32 v13, v12, s17
	v_add_nc_u32_e32 v14, 1, v12
	v_sub_nc_u32_e32 v13, v16, v13
	s_delay_alu instid0(VALU_DEP_1) | instskip(SKIP_1) | instid1(VALU_DEP_1)
	v_subrev_nc_u32_e32 v15, s17, v13
	v_cmp_le_u32_e64 s1, s17, v13
	v_cndmask_b32_e64 v12, v12, v14, s1
	s_delay_alu instid0(VALU_DEP_3) | instskip(NEXT) | instid1(VALU_DEP_2)
	v_cndmask_b32_e64 v13, v13, v15, s1
	v_add_nc_u32_e32 v14, 1, v12
	s_delay_alu instid0(VALU_DEP_2) | instskip(NEXT) | instid1(VALU_DEP_1)
	v_cmp_le_u32_e64 s1, s17, v13
	v_cndmask_b32_e64 v14, v12, v14, s1
	s_delay_alu instid0(VALU_DEP_1) | instskip(NEXT) | instid1(VALU_DEP_1)
	v_add_co_u32 v15, s1, v14, v32
	v_add_co_ci_u32_e64 v17, null, 0, 0, s1
	v_mul_lo_u32 v34, v14, s17
	s_delay_alu instid0(VALU_DEP_3) | instskip(NEXT) | instid1(VALU_DEP_1)
	v_mad_u64_u32 v[12:13], null, v15, s5, 0
	v_mad_u64_u32 v[14:15], null, v17, s5, v[13:14]
	s_delay_alu instid0(VALU_DEP_3) | instskip(NEXT) | instid1(VALU_DEP_1)
	v_sub_nc_u32_e32 v13, v16, v34
	v_cmp_eq_u32_e64 s1, 0, v13
	s_delay_alu instid0(VALU_DEP_3)
	v_mov_b32_e32 v34, v14
	v_dual_mov_b32 v14, v1 :: v_dual_mov_b32 v13, v0
	s_branch .LBB3_18
.LBB3_16:                               ;   in Loop: Header=BB3_18 Depth=3
	s_or_b32 exec_lo, exec_lo, s44
.LBB3_17:                               ;   in Loop: Header=BB3_18 Depth=3
	s_delay_alu instid0(SALU_CYCLE_1) | instskip(SKIP_1) | instid1(VALU_DEP_1)
	s_or_b32 exec_lo, exec_lo, s43
	v_add_co_u32 v13, s2, v13, 1
	v_add_co_ci_u32_e64 v14, s2, 0, v14, s2
	s_delay_alu instid0(VALU_DEP_2) | instskip(NEXT) | instid1(VALU_DEP_1)
	v_cmp_ge_u32_e64 s2, v13, v30
	s_or_b32 s42, s2, s42
	s_delay_alu instid0(SALU_CYCLE_1)
	s_and_not1_b32 exec_lo, exec_lo, s42
	s_cbranch_execz .LBB3_12
.LBB3_18:                               ;   Parent Loop BB3_4 Depth=1
                                        ;     Parent Loop BB3_14 Depth=2
                                        ; =>    This Loop Header: Depth=3
                                        ;         Child Loop BB3_23 Depth 4
	s_and_saveexec_b32 s43, s0
	s_cbranch_execz .LBB3_17
; %bb.19:                               ;   in Loop: Header=BB3_18 Depth=3
	s_delay_alu instid0(VALU_DEP_1) | instskip(SKIP_1) | instid1(VALU_DEP_1)
	v_mul_lo_u32 v15, v13, s15
	s_mov_b32 s44, 0
	v_sub_nc_u32_e32 v17, v3, v15
	s_delay_alu instid0(VALU_DEP_1) | instskip(NEXT) | instid1(VALU_DEP_1)
	v_mul_hi_u32 v15, v17, v26
	v_mul_lo_u32 v16, v15, s18
	v_add_nc_u32_e32 v35, 1, v15
	s_delay_alu instid0(VALU_DEP_2) | instskip(NEXT) | instid1(VALU_DEP_1)
	v_sub_nc_u32_e32 v16, v17, v16
	v_subrev_nc_u32_e32 v36, s18, v16
	v_cmp_le_u32_e64 s2, s18, v16
	s_delay_alu instid0(VALU_DEP_1) | instskip(NEXT) | instid1(VALU_DEP_3)
	v_cndmask_b32_e64 v15, v15, v35, s2
	v_cndmask_b32_e64 v16, v16, v36, s2
	s_delay_alu instid0(VALU_DEP_2) | instskip(NEXT) | instid1(VALU_DEP_2)
	v_add_nc_u32_e32 v35, 1, v15
	v_cmp_le_u32_e64 s2, s18, v16
	s_delay_alu instid0(VALU_DEP_1) | instskip(NEXT) | instid1(VALU_DEP_1)
	v_cndmask_b32_e64 v35, v15, v35, s2
	v_add_co_u32 v36, s2, v12, v35
	v_mul_lo_u32 v35, v35, s18
	v_add_co_ci_u32_e64 v38, s2, 0, v34, s2
	s_delay_alu instid0(VALU_DEP_3) | instskip(NEXT) | instid1(VALU_DEP_1)
	v_mad_u64_u32 v[15:16], null, v36, s10, 0
	v_mad_u64_u32 v[36:37], null, v38, s10, v[16:17]
	s_delay_alu instid0(VALU_DEP_4) | instskip(SKIP_2) | instid1(VALU_DEP_3)
	v_sub_nc_u32_e32 v37, v17, v35
	v_dual_mov_b32 v17, v11 :: v_dual_mov_b32 v16, v10
	v_mov_b32_e32 v35, v33
	v_cmp_eq_u32_e64 s2, 0, v37
	v_mov_b32_e32 v37, v6
	s_branch .LBB3_23
.LBB3_20:                               ;   in Loop: Header=BB3_23 Depth=4
	s_or_b32 exec_lo, exec_lo, s46
.LBB3_21:                               ;   in Loop: Header=BB3_23 Depth=4
	s_delay_alu instid0(SALU_CYCLE_1)
	s_or_b32 exec_lo, exec_lo, s45
.LBB3_22:                               ;   in Loop: Header=BB3_23 Depth=4
	s_delay_alu instid0(SALU_CYCLE_1) | instskip(SKIP_2) | instid1(VALU_DEP_1)
	s_or_b32 exec_lo, exec_lo, s4
	v_add_nc_u32_e32 v37, 1, v37
	v_add_co_u32 v16, s4, v16, 2
	v_add_co_ci_u32_e64 v17, s4, 0, v17, s4
	s_delay_alu instid0(VALU_DEP_3) | instskip(SKIP_1) | instid1(VALU_DEP_2)
	v_cmp_ge_u32_e64 s3, v37, v31
	v_subrev_nc_u32_e32 v35, s16, v35
	s_or_b32 s44, s3, s44
	s_delay_alu instid0(SALU_CYCLE_1)
	s_and_not1_b32 exec_lo, exec_lo, s44
	s_cbranch_execz .LBB3_16
.LBB3_23:                               ;   Parent Loop BB3_4 Depth=1
                                        ;     Parent Loop BB3_14 Depth=2
                                        ;       Parent Loop BB3_18 Depth=3
                                        ; =>      This Inner Loop Header: Depth=4
	s_and_saveexec_b32 s4, s1
	s_cbranch_execz .LBB3_22
; %bb.24:                               ;   in Loop: Header=BB3_23 Depth=4
	s_and_saveexec_b32 s45, s2
	s_cbranch_execz .LBB3_21
; %bb.25:                               ;   in Loop: Header=BB3_23 Depth=4
	v_mul_hi_u32 v38, v35, v27
	s_mov_b32 s46, exec_lo
	s_delay_alu instid0(VALU_DEP_1) | instskip(SKIP_1) | instid1(VALU_DEP_2)
	v_mul_lo_u32 v39, v38, s19
	v_add_nc_u32_e32 v40, 1, v38
	v_sub_nc_u32_e32 v39, v35, v39
	s_delay_alu instid0(VALU_DEP_1) | instskip(SKIP_1) | instid1(VALU_DEP_1)
	v_subrev_nc_u32_e32 v41, s19, v39
	v_cmp_le_u32_e64 s3, s19, v39
	v_cndmask_b32_e64 v38, v38, v40, s3
	s_delay_alu instid0(VALU_DEP_3) | instskip(NEXT) | instid1(VALU_DEP_2)
	v_cndmask_b32_e64 v39, v39, v41, s3
	v_add_nc_u32_e32 v40, 1, v38
	s_delay_alu instid0(VALU_DEP_2) | instskip(NEXT) | instid1(VALU_DEP_1)
	v_cmp_le_u32_e64 s3, s19, v39
	v_cndmask_b32_e64 v38, v38, v40, s3
	s_delay_alu instid0(VALU_DEP_1) | instskip(NEXT) | instid1(VALU_DEP_1)
	v_mul_lo_u32 v39, v38, s19
	v_sub_nc_u32_e32 v39, v35, v39
	s_delay_alu instid0(VALU_DEP_1)
	v_cmpx_eq_u32_e32 0, v39
	s_cbranch_execz .LBB3_20
; %bb.26:                               ;   in Loop: Header=BB3_23 Depth=4
	v_add_co_u32 v40, s3, v15, v38
	s_delay_alu instid0(VALU_DEP_1) | instskip(NEXT) | instid1(VALU_DEP_2)
	v_add_co_ci_u32_e64 v44, s3, 0, v36, s3
	v_mad_u64_u32 v[38:39], null, v40, s20, v[8:9]
	s_delay_alu instid0(VALU_DEP_1) | instskip(NEXT) | instid1(VALU_DEP_1)
	v_mad_u64_u32 v[40:41], null, s37, v38, v[13:14]
	v_mad_u64_u32 v[42:43], null, v44, s20, v[39:40]
	s_delay_alu instid0(VALU_DEP_2) | instskip(SKIP_1) | instid1(VALU_DEP_2)
	v_mov_b32_e32 v38, v41
	v_mul_lo_u32 v41, s35, v40
	v_mad_u64_u32 v[43:44], null, s37, v42, v[38:39]
	v_mad_u64_u32 v[38:39], null, s34, v40, v[16:17]
	s_delay_alu instid0(VALU_DEP_2) | instskip(NEXT) | instid1(VALU_DEP_1)
	v_mul_lo_u32 v42, s34, v43
	v_add3_u32 v39, v41, v39, v42
	global_load_u16 v38, v[38:39], off
	s_waitcnt vmcnt(0)
	v_lshlrev_b32_e32 v38, 16, v38
	s_delay_alu instid0(VALU_DEP_1)
	v_add_f32_e32 v7, v7, v38
	s_branch .LBB3_20
.LBB3_27:
	s_nop 0
	s_sendmsg sendmsg(MSG_DEALLOC_VGPRS)
	s_endpgm
	.section	.rodata,"a",@progbits
	.p2align	6, 0x0
	.amdhsa_kernel _ZN2at6native13vol2im_kernelIN3c108BFloat16EfEEvlPKT_jjjjjjjjjjjjjjjjjjjPS4_
		.amdhsa_group_segment_fixed_size 0
		.amdhsa_private_segment_fixed_size 0
		.amdhsa_kernarg_size 360
		.amdhsa_user_sgpr_count 15
		.amdhsa_user_sgpr_dispatch_ptr 0
		.amdhsa_user_sgpr_queue_ptr 0
		.amdhsa_user_sgpr_kernarg_segment_ptr 1
		.amdhsa_user_sgpr_dispatch_id 0
		.amdhsa_user_sgpr_private_segment_size 0
		.amdhsa_wavefront_size32 1
		.amdhsa_uses_dynamic_stack 0
		.amdhsa_enable_private_segment 0
		.amdhsa_system_sgpr_workgroup_id_x 1
		.amdhsa_system_sgpr_workgroup_id_y 0
		.amdhsa_system_sgpr_workgroup_id_z 0
		.amdhsa_system_sgpr_workgroup_info 0
		.amdhsa_system_vgpr_workitem_id 0
		.amdhsa_next_free_vgpr 45
		.amdhsa_next_free_sgpr 47
		.amdhsa_reserve_vcc 1
		.amdhsa_float_round_mode_32 0
		.amdhsa_float_round_mode_16_64 0
		.amdhsa_float_denorm_mode_32 3
		.amdhsa_float_denorm_mode_16_64 3
		.amdhsa_dx10_clamp 1
		.amdhsa_ieee_mode 1
		.amdhsa_fp16_overflow 0
		.amdhsa_workgroup_processor_mode 1
		.amdhsa_memory_ordered 1
		.amdhsa_forward_progress 0
		.amdhsa_shared_vgpr_count 0
		.amdhsa_exception_fp_ieee_invalid_op 0
		.amdhsa_exception_fp_denorm_src 0
		.amdhsa_exception_fp_ieee_div_zero 0
		.amdhsa_exception_fp_ieee_overflow 0
		.amdhsa_exception_fp_ieee_underflow 0
		.amdhsa_exception_fp_ieee_inexact 0
		.amdhsa_exception_int_div_zero 0
	.end_amdhsa_kernel
	.section	.text._ZN2at6native13vol2im_kernelIN3c108BFloat16EfEEvlPKT_jjjjjjjjjjjjjjjjjjjPS4_,"axG",@progbits,_ZN2at6native13vol2im_kernelIN3c108BFloat16EfEEvlPKT_jjjjjjjjjjjjjjjjjjjPS4_,comdat
.Lfunc_end3:
	.size	_ZN2at6native13vol2im_kernelIN3c108BFloat16EfEEvlPKT_jjjjjjjjjjjjjjjjjjjPS4_, .Lfunc_end3-_ZN2at6native13vol2im_kernelIN3c108BFloat16EfEEvlPKT_jjjjjjjjjjjjjjjjjjjPS4_
                                        ; -- End function
	.section	.AMDGPU.csdata,"",@progbits
; Kernel info:
; codeLenInByte = 2624
; NumSgprs: 49
; NumVgprs: 45
; ScratchSize: 0
; MemoryBound: 0
; FloatMode: 240
; IeeeMode: 1
; LDSByteSize: 0 bytes/workgroup (compile time only)
; SGPRBlocks: 6
; VGPRBlocks: 5
; NumSGPRsForWavesPerEU: 49
; NumVGPRsForWavesPerEU: 45
; Occupancy: 16
; WaveLimiterHint : 0
; COMPUTE_PGM_RSRC2:SCRATCH_EN: 0
; COMPUTE_PGM_RSRC2:USER_SGPR: 15
; COMPUTE_PGM_RSRC2:TRAP_HANDLER: 0
; COMPUTE_PGM_RSRC2:TGID_X_EN: 1
; COMPUTE_PGM_RSRC2:TGID_Y_EN: 0
; COMPUTE_PGM_RSRC2:TGID_Z_EN: 0
; COMPUTE_PGM_RSRC2:TIDIG_COMP_CNT: 0
	.section	.text._ZN2at6native14vol2col_kernelIdEEvlPKT_iiiiiiiiiiiiiiiiiiPS2_,"axG",@progbits,_ZN2at6native14vol2col_kernelIdEEvlPKT_iiiiiiiiiiiiiiiiiiPS2_,comdat
	.protected	_ZN2at6native14vol2col_kernelIdEEvlPKT_iiiiiiiiiiiiiiiiiiPS2_ ; -- Begin function _ZN2at6native14vol2col_kernelIdEEvlPKT_iiiiiiiiiiiiiiiiiiPS2_
	.globl	_ZN2at6native14vol2col_kernelIdEEvlPKT_iiiiiiiiiiiiiiiiiiPS2_
	.p2align	8
	.type	_ZN2at6native14vol2col_kernelIdEEvlPKT_iiiiiiiiiiiiiiiiiiPS2_,@function
_ZN2at6native14vol2col_kernelIdEEvlPKT_iiiiiiiiiiiiiiiiiiPS2_: ; @_ZN2at6native14vol2col_kernelIdEEvlPKT_iiiiiiiiiiiiiiiiiiPS2_
; %bb.0:
	s_clause 0x1
	s_load_b32 s2, s[0:1], 0x6c
	s_load_b128 s[20:23], s[0:1], 0x0
	v_mov_b32_e32 v2, 0
	s_add_u32 s24, s0, 0x60
	s_addc_u32 s25, s1, 0
	s_delay_alu instid0(VALU_DEP_1) | instskip(SKIP_3) | instid1(VALU_DEP_1)
	v_mov_b32_e32 v1, v2
	s_waitcnt lgkmcnt(0)
	s_and_b32 s48, s2, 0xffff
	s_mov_b32 s2, exec_lo
	v_mad_u64_u32 v[4:5], null, s48, s15, v[0:1]
	s_delay_alu instid0(VALU_DEP_1)
	v_cmpx_gt_i64_e64 s[20:21], v[4:5]
	s_cbranch_execz .LBB4_26
; %bb.1:
	s_clause 0x1
	s_load_b512 s[4:19], s[0:1], 0x10
	s_load_b128 s[0:3], s[0:1], 0x50
	s_load_b32 s49, s[24:25], 0x0
	s_mov_b32 s46, 0
	s_waitcnt lgkmcnt(0)
	s_ashr_i32 s33, s10, 31
	s_mov_b32 s27, s1
	s_mul_i32 s45, s0, s19
	v_cvt_f32_u32_e32 v0, s27
	s_ashr_i32 s28, s0, 31
	s_mov_b32 s29, s0
	s_ashr_i32 s0, s9, 31
	s_mov_b32 s34, s10
	v_rcp_iflag_f32_e32 v0, v0
	s_mul_i32 s10, s8, s7
	s_ashr_i32 s35, s14, 31
	s_mov_b32 s36, s14
	s_ashr_i32 s37, s11, 31
	s_mov_b32 s38, s11
	s_mul_i32 s0, s10, s0
	s_mul_hi_u32 s11, s10, s9
	s_mul_hi_i32 s14, s8, s7
	s_add_i32 s0, s11, s0
	s_mul_i32 s14, s14, s9
	s_ashr_i32 s26, s1, 31
	s_ashr_i32 s30, s19, 31
	;; [unrolled: 1-line block ×4, first 2 shown]
	s_mov_b32 s40, s15
	s_ashr_i32 s41, s12, 31
	s_add_i32 s42, s0, s14
	s_ashr_i32 s11, s4, 31
	s_ashr_i32 s15, s5, 31
	;; [unrolled: 1-line block ×3, first 2 shown]
	s_cmp_gt_i32 s7, 0
	s_waitcnt_depctr 0xfff
	v_dual_mul_f32 v3, 0x4f7ffffe, v0 :: v_dual_mov_b32 v0, s22
	s_cselect_b32 s44, -1, 0
	s_cmp_gt_i32 s8, 0
	s_mul_i32 s0, s45, s1
	s_cselect_b32 s45, -1, 0
	s_cmp_gt_i32 s9, 0
	v_mov_b32_e32 v7, s3
	v_dual_mov_b32 v1, s23 :: v_dual_mov_b32 v6, s2
	v_cvt_u32_f32_e32 v16, v3
	s_cselect_b32 s47, -1, 0
	s_ashr_i32 s1, s0, 31
	s_mul_i32 s48, s49, s48
	s_mul_i32 s49, s16, s6
	s_mul_i32 s43, s10, s9
	s_mov_b32 s10, s4
	s_mov_b32 s14, s5
	;; [unrolled: 1-line block ×3, first 2 shown]
	s_lshl_b64 s[22:23], s[0:1], 3
	s_mul_i32 s49, s49, s5
	s_mul_i32 s6, s17, s6
	s_branch .LBB4_3
.LBB4_2:                                ;   in Loop: Header=BB4_3 Depth=1
	v_add_co_u32 v4, vcc_lo, v4, s48
	v_add_co_ci_u32_e32 v5, vcc_lo, 0, v5, vcc_lo
	s_delay_alu instid0(VALU_DEP_1) | instskip(SKIP_1) | instid1(SALU_CYCLE_1)
	v_cmp_le_i64_e32 vcc_lo, s[20:21], v[4:5]
	s_or_b32 s46, vcc_lo, s46
	s_and_not1_b32 exec_lo, exec_lo, s46
	s_cbranch_execz .LBB4_26
.LBB4_3:                                ; =>This Loop Header: Depth=1
                                        ;     Child Loop BB4_18 Depth 2
                                        ;       Child Loop BB4_21 Depth 3
                                        ;         Child Loop BB4_24 Depth 4
	v_or_b32_e32 v3, s26, v5
                                        ; implicit-def: $vgpr8_vgpr9
	s_mov_b32 s0, exec_lo
	s_delay_alu instid0(VALU_DEP_1)
	v_cmpx_ne_u64_e32 0, v[2:3]
	s_xor_b32 s1, exec_lo, s0
	s_cbranch_execz .LBB4_5
; %bb.4:                                ;   in Loop: Header=BB4_3 Depth=1
	s_add_u32 s4, s27, s26
	s_mov_b32 s2, s26
	s_mov_b32 s3, s26
	s_addc_u32 s5, s26, s26
	s_delay_alu instid0(SALU_CYCLE_1) | instskip(NEXT) | instid1(SALU_CYCLE_1)
	s_xor_b64 s[4:5], s[4:5], s[2:3]
	v_cvt_f32_u32_e32 v3, s4
	v_cvt_f32_u32_e32 v8, s5
	s_sub_u32 s0, 0, s4
	s_subb_u32 s50, 0, s5
	s_delay_alu instid0(VALU_DEP_1) | instskip(NEXT) | instid1(VALU_DEP_1)
	v_fmac_f32_e32 v3, 0x4f800000, v8
	v_rcp_f32_e32 v3, v3
	s_waitcnt_depctr 0xfff
	v_mul_f32_e32 v3, 0x5f7ffffc, v3
	s_delay_alu instid0(VALU_DEP_1) | instskip(NEXT) | instid1(VALU_DEP_1)
	v_mul_f32_e32 v8, 0x2f800000, v3
	v_trunc_f32_e32 v8, v8
	s_delay_alu instid0(VALU_DEP_1) | instskip(SKIP_1) | instid1(VALU_DEP_2)
	v_fmac_f32_e32 v3, 0xcf800000, v8
	v_cvt_u32_f32_e32 v8, v8
	v_cvt_u32_f32_e32 v3, v3
	s_delay_alu instid0(VALU_DEP_2) | instskip(NEXT) | instid1(VALU_DEP_2)
	v_mul_lo_u32 v9, s0, v8
	v_mul_hi_u32 v10, s0, v3
	v_mul_lo_u32 v11, s50, v3
	s_delay_alu instid0(VALU_DEP_2) | instskip(SKIP_1) | instid1(VALU_DEP_2)
	v_add_nc_u32_e32 v9, v10, v9
	v_mul_lo_u32 v10, s0, v3
	v_add_nc_u32_e32 v9, v9, v11
	s_delay_alu instid0(VALU_DEP_2) | instskip(NEXT) | instid1(VALU_DEP_2)
	v_mul_hi_u32 v11, v3, v10
	v_mul_lo_u32 v12, v3, v9
	v_mul_hi_u32 v13, v3, v9
	v_mul_hi_u32 v14, v8, v10
	v_mul_lo_u32 v10, v8, v10
	v_mul_hi_u32 v15, v8, v9
	v_mul_lo_u32 v9, v8, v9
	v_add_co_u32 v11, vcc_lo, v11, v12
	v_add_co_ci_u32_e32 v12, vcc_lo, 0, v13, vcc_lo
	s_delay_alu instid0(VALU_DEP_2) | instskip(NEXT) | instid1(VALU_DEP_2)
	v_add_co_u32 v10, vcc_lo, v11, v10
	v_add_co_ci_u32_e32 v10, vcc_lo, v12, v14, vcc_lo
	v_add_co_ci_u32_e32 v11, vcc_lo, 0, v15, vcc_lo
	v_ashrrev_i32_e32 v14, 31, v5
	s_delay_alu instid0(VALU_DEP_3) | instskip(NEXT) | instid1(VALU_DEP_3)
	v_add_co_u32 v9, vcc_lo, v10, v9
	v_add_co_ci_u32_e32 v10, vcc_lo, 0, v11, vcc_lo
	s_delay_alu instid0(VALU_DEP_2) | instskip(NEXT) | instid1(VALU_DEP_2)
	v_add_co_u32 v3, vcc_lo, v3, v9
	v_add_co_ci_u32_e32 v8, vcc_lo, v8, v10, vcc_lo
	s_delay_alu instid0(VALU_DEP_2) | instskip(SKIP_1) | instid1(VALU_DEP_3)
	v_mul_hi_u32 v9, s0, v3
	v_mul_lo_u32 v11, s50, v3
	v_mul_lo_u32 v10, s0, v8
	s_delay_alu instid0(VALU_DEP_1) | instskip(SKIP_1) | instid1(VALU_DEP_2)
	v_add_nc_u32_e32 v9, v9, v10
	v_mul_lo_u32 v10, s0, v3
	v_add_nc_u32_e32 v9, v9, v11
	s_delay_alu instid0(VALU_DEP_2) | instskip(NEXT) | instid1(VALU_DEP_2)
	v_mul_hi_u32 v11, v3, v10
	v_mul_lo_u32 v12, v3, v9
	v_mul_hi_u32 v13, v3, v9
	v_mul_hi_u32 v15, v8, v10
	v_mul_lo_u32 v10, v8, v10
	v_mul_hi_u32 v17, v8, v9
	v_mul_lo_u32 v9, v8, v9
	v_add_co_u32 v11, vcc_lo, v11, v12
	v_add_co_ci_u32_e32 v12, vcc_lo, 0, v13, vcc_lo
	s_delay_alu instid0(VALU_DEP_2) | instskip(NEXT) | instid1(VALU_DEP_2)
	v_add_co_u32 v10, vcc_lo, v11, v10
	v_add_co_ci_u32_e32 v10, vcc_lo, v12, v15, vcc_lo
	v_add_co_ci_u32_e32 v11, vcc_lo, 0, v17, vcc_lo
	v_add_co_u32 v12, vcc_lo, v4, v14
	v_add_co_ci_u32_e32 v13, vcc_lo, v5, v14, vcc_lo
	s_delay_alu instid0(VALU_DEP_4) | instskip(NEXT) | instid1(VALU_DEP_4)
	v_add_co_u32 v9, vcc_lo, v10, v9
	v_add_co_ci_u32_e32 v10, vcc_lo, 0, v11, vcc_lo
	s_delay_alu instid0(VALU_DEP_4) | instskip(NEXT) | instid1(VALU_DEP_3)
	v_xor_b32_e32 v15, v12, v14
	v_add_co_u32 v3, vcc_lo, v3, v9
	s_delay_alu instid0(VALU_DEP_3) | instskip(SKIP_1) | instid1(VALU_DEP_3)
	v_add_co_ci_u32_e32 v17, vcc_lo, v8, v10, vcc_lo
	v_xor_b32_e32 v18, v13, v14
	v_mul_hi_u32 v19, v15, v3
	s_delay_alu instid0(VALU_DEP_3) | instskip(NEXT) | instid1(VALU_DEP_3)
	v_mad_u64_u32 v[8:9], null, v15, v17, 0
	v_mad_u64_u32 v[10:11], null, v18, v3, 0
	;; [unrolled: 1-line block ×3, first 2 shown]
	s_delay_alu instid0(VALU_DEP_3) | instskip(NEXT) | instid1(VALU_DEP_4)
	v_add_co_u32 v3, vcc_lo, v19, v8
	v_add_co_ci_u32_e32 v8, vcc_lo, 0, v9, vcc_lo
	s_delay_alu instid0(VALU_DEP_2) | instskip(NEXT) | instid1(VALU_DEP_2)
	v_add_co_u32 v3, vcc_lo, v3, v10
	v_add_co_ci_u32_e32 v3, vcc_lo, v8, v11, vcc_lo
	v_add_co_ci_u32_e32 v8, vcc_lo, 0, v13, vcc_lo
	s_delay_alu instid0(VALU_DEP_2) | instskip(NEXT) | instid1(VALU_DEP_2)
	v_add_co_u32 v3, vcc_lo, v3, v12
	v_add_co_ci_u32_e32 v10, vcc_lo, 0, v8, vcc_lo
	s_delay_alu instid0(VALU_DEP_2) | instskip(SKIP_1) | instid1(VALU_DEP_3)
	v_mul_lo_u32 v11, s5, v3
	v_mad_u64_u32 v[8:9], null, s4, v3, 0
	v_mul_lo_u32 v12, s4, v10
	s_delay_alu instid0(VALU_DEP_2) | instskip(NEXT) | instid1(VALU_DEP_2)
	v_sub_co_u32 v8, vcc_lo, v15, v8
	v_add3_u32 v9, v9, v12, v11
	s_delay_alu instid0(VALU_DEP_1) | instskip(NEXT) | instid1(VALU_DEP_1)
	v_sub_nc_u32_e32 v11, v18, v9
	v_subrev_co_ci_u32_e64 v11, s0, s5, v11, vcc_lo
	v_add_co_u32 v12, s0, v3, 2
	s_delay_alu instid0(VALU_DEP_1) | instskip(SKIP_3) | instid1(VALU_DEP_3)
	v_add_co_ci_u32_e64 v13, s0, 0, v10, s0
	v_sub_co_u32 v15, s0, v8, s4
	v_sub_co_ci_u32_e32 v9, vcc_lo, v18, v9, vcc_lo
	v_subrev_co_ci_u32_e64 v11, s0, 0, v11, s0
	v_cmp_le_u32_e32 vcc_lo, s4, v15
	s_delay_alu instid0(VALU_DEP_3) | instskip(SKIP_1) | instid1(VALU_DEP_4)
	v_cmp_eq_u32_e64 s0, s5, v9
	v_cndmask_b32_e64 v15, 0, -1, vcc_lo
	v_cmp_le_u32_e32 vcc_lo, s5, v11
	v_cndmask_b32_e64 v17, 0, -1, vcc_lo
	v_cmp_le_u32_e32 vcc_lo, s4, v8
	;; [unrolled: 2-line block ×3, first 2 shown]
	v_cndmask_b32_e64 v18, 0, -1, vcc_lo
	v_cmp_eq_u32_e32 vcc_lo, s5, v11
	s_delay_alu instid0(VALU_DEP_2) | instskip(SKIP_3) | instid1(VALU_DEP_3)
	v_cndmask_b32_e64 v8, v18, v8, s0
	v_cndmask_b32_e32 v11, v17, v15, vcc_lo
	v_add_co_u32 v15, vcc_lo, v3, 1
	v_add_co_ci_u32_e32 v17, vcc_lo, 0, v10, vcc_lo
	v_cmp_ne_u32_e32 vcc_lo, 0, v11
	s_delay_alu instid0(VALU_DEP_2) | instskip(NEXT) | instid1(VALU_DEP_4)
	v_cndmask_b32_e32 v9, v17, v13, vcc_lo
	v_cndmask_b32_e32 v11, v15, v12, vcc_lo
	v_cmp_ne_u32_e32 vcc_lo, 0, v8
	v_xor_b32_e32 v8, s2, v14
	s_delay_alu instid0(VALU_DEP_3) | instskip(SKIP_2) | instid1(VALU_DEP_3)
	v_cndmask_b32_e32 v3, v3, v11, vcc_lo
	v_cndmask_b32_e32 v9, v10, v9, vcc_lo
	v_xor_b32_e32 v10, s3, v14
	v_xor_b32_e32 v3, v3, v8
	s_delay_alu instid0(VALU_DEP_2) | instskip(NEXT) | instid1(VALU_DEP_2)
	v_xor_b32_e32 v9, v9, v10
	v_sub_co_u32 v8, vcc_lo, v3, v8
	s_delay_alu instid0(VALU_DEP_2)
	v_sub_co_ci_u32_e32 v9, vcc_lo, v9, v10, vcc_lo
.LBB4_5:                                ;   in Loop: Header=BB4_3 Depth=1
	s_and_not1_saveexec_b32 s0, s1
	s_cbranch_execz .LBB4_7
; %bb.6:                                ;   in Loop: Header=BB4_3 Depth=1
	s_sub_i32 s1, 0, s27
	s_delay_alu instid0(SALU_CYCLE_1) | instskip(NEXT) | instid1(VALU_DEP_1)
	v_mul_lo_u32 v3, s1, v16
	v_mul_hi_u32 v3, v16, v3
	s_delay_alu instid0(VALU_DEP_1) | instskip(NEXT) | instid1(VALU_DEP_1)
	v_add_nc_u32_e32 v3, v16, v3
	v_mul_hi_u32 v3, v4, v3
	s_delay_alu instid0(VALU_DEP_1) | instskip(NEXT) | instid1(VALU_DEP_1)
	v_mul_lo_u32 v8, v3, s27
	v_sub_nc_u32_e32 v8, v4, v8
	s_delay_alu instid0(VALU_DEP_1) | instskip(SKIP_1) | instid1(VALU_DEP_2)
	v_subrev_nc_u32_e32 v10, s27, v8
	v_cmp_le_u32_e32 vcc_lo, s27, v8
	v_dual_cndmask_b32 v8, v8, v10 :: v_dual_add_nc_u32 v9, 1, v3
	s_delay_alu instid0(VALU_DEP_1) | instskip(NEXT) | instid1(VALU_DEP_2)
	v_cndmask_b32_e32 v3, v3, v9, vcc_lo
	v_cmp_le_u32_e32 vcc_lo, s27, v8
	s_delay_alu instid0(VALU_DEP_2) | instskip(NEXT) | instid1(VALU_DEP_1)
	v_add_nc_u32_e32 v9, 1, v3
	v_dual_cndmask_b32 v8, v3, v9 :: v_dual_mov_b32 v9, v2
.LBB4_7:                                ;   in Loop: Header=BB4_3 Depth=1
	s_or_b32 exec_lo, exec_lo, s0
	s_delay_alu instid0(VALU_DEP_1) | instskip(SKIP_1) | instid1(VALU_DEP_1)
	v_or_b32_e32 v3, s28, v9
                                        ; implicit-def: $vgpr10_vgpr11
	s_mov_b32 s0, exec_lo
	v_cmpx_ne_u64_e32 0, v[2:3]
	s_xor_b32 s1, exec_lo, s0
	s_cbranch_execz .LBB4_9
; %bb.8:                                ;   in Loop: Header=BB4_3 Depth=1
	s_add_u32 s4, s29, s28
	s_mov_b32 s2, s28
	s_mov_b32 s3, s28
	s_addc_u32 s5, s28, s28
	s_delay_alu instid0(SALU_CYCLE_1) | instskip(NEXT) | instid1(SALU_CYCLE_1)
	s_xor_b64 s[4:5], s[4:5], s[2:3]
	v_cvt_f32_u32_e32 v3, s4
	v_cvt_f32_u32_e32 v10, s5
	s_sub_u32 s0, 0, s4
	s_subb_u32 s50, 0, s5
	s_delay_alu instid0(VALU_DEP_1) | instskip(NEXT) | instid1(VALU_DEP_1)
	v_fmac_f32_e32 v3, 0x4f800000, v10
	v_rcp_f32_e32 v3, v3
	s_waitcnt_depctr 0xfff
	v_mul_f32_e32 v3, 0x5f7ffffc, v3
	s_delay_alu instid0(VALU_DEP_1) | instskip(NEXT) | instid1(VALU_DEP_1)
	v_mul_f32_e32 v10, 0x2f800000, v3
	v_trunc_f32_e32 v10, v10
	s_delay_alu instid0(VALU_DEP_1) | instskip(SKIP_1) | instid1(VALU_DEP_2)
	v_fmac_f32_e32 v3, 0xcf800000, v10
	v_cvt_u32_f32_e32 v10, v10
	v_cvt_u32_f32_e32 v3, v3
	s_delay_alu instid0(VALU_DEP_2) | instskip(NEXT) | instid1(VALU_DEP_2)
	v_mul_lo_u32 v11, s0, v10
	v_mul_hi_u32 v12, s0, v3
	v_mul_lo_u32 v13, s50, v3
	s_delay_alu instid0(VALU_DEP_2) | instskip(SKIP_1) | instid1(VALU_DEP_2)
	v_add_nc_u32_e32 v11, v12, v11
	v_mul_lo_u32 v12, s0, v3
	v_add_nc_u32_e32 v11, v11, v13
	s_delay_alu instid0(VALU_DEP_2) | instskip(NEXT) | instid1(VALU_DEP_2)
	v_mul_hi_u32 v13, v3, v12
	v_mul_lo_u32 v14, v3, v11
	v_mul_hi_u32 v15, v3, v11
	v_mul_hi_u32 v17, v10, v12
	v_mul_lo_u32 v12, v10, v12
	v_mul_hi_u32 v18, v10, v11
	v_mul_lo_u32 v11, v10, v11
	v_add_co_u32 v13, vcc_lo, v13, v14
	v_add_co_ci_u32_e32 v14, vcc_lo, 0, v15, vcc_lo
	s_delay_alu instid0(VALU_DEP_2) | instskip(NEXT) | instid1(VALU_DEP_2)
	v_add_co_u32 v12, vcc_lo, v13, v12
	v_add_co_ci_u32_e32 v12, vcc_lo, v14, v17, vcc_lo
	v_add_co_ci_u32_e32 v13, vcc_lo, 0, v18, vcc_lo
	v_ashrrev_i32_e32 v17, 31, v9
	s_delay_alu instid0(VALU_DEP_3) | instskip(NEXT) | instid1(VALU_DEP_3)
	v_add_co_u32 v11, vcc_lo, v12, v11
	v_add_co_ci_u32_e32 v12, vcc_lo, 0, v13, vcc_lo
	s_delay_alu instid0(VALU_DEP_2) | instskip(NEXT) | instid1(VALU_DEP_2)
	v_add_co_u32 v3, vcc_lo, v3, v11
	v_add_co_ci_u32_e32 v10, vcc_lo, v10, v12, vcc_lo
	s_delay_alu instid0(VALU_DEP_2) | instskip(SKIP_1) | instid1(VALU_DEP_3)
	v_mul_hi_u32 v11, s0, v3
	v_mul_lo_u32 v13, s50, v3
	v_mul_lo_u32 v12, s0, v10
	s_delay_alu instid0(VALU_DEP_1) | instskip(SKIP_1) | instid1(VALU_DEP_2)
	v_add_nc_u32_e32 v11, v11, v12
	v_mul_lo_u32 v12, s0, v3
	v_add_nc_u32_e32 v11, v11, v13
	s_delay_alu instid0(VALU_DEP_2) | instskip(NEXT) | instid1(VALU_DEP_2)
	v_mul_hi_u32 v13, v3, v12
	v_mul_lo_u32 v14, v3, v11
	v_mul_hi_u32 v15, v3, v11
	v_mul_hi_u32 v18, v10, v12
	v_mul_lo_u32 v12, v10, v12
	v_mul_hi_u32 v19, v10, v11
	v_mul_lo_u32 v11, v10, v11
	v_add_co_u32 v13, vcc_lo, v13, v14
	v_add_co_ci_u32_e32 v14, vcc_lo, 0, v15, vcc_lo
	s_delay_alu instid0(VALU_DEP_2) | instskip(NEXT) | instid1(VALU_DEP_2)
	v_add_co_u32 v12, vcc_lo, v13, v12
	v_add_co_ci_u32_e32 v12, vcc_lo, v14, v18, vcc_lo
	v_add_co_ci_u32_e32 v13, vcc_lo, 0, v19, vcc_lo
	v_add_co_u32 v14, vcc_lo, v8, v17
	v_add_co_ci_u32_e32 v15, vcc_lo, v9, v17, vcc_lo
	s_delay_alu instid0(VALU_DEP_4) | instskip(NEXT) | instid1(VALU_DEP_4)
	v_add_co_u32 v11, vcc_lo, v12, v11
	v_add_co_ci_u32_e32 v12, vcc_lo, 0, v13, vcc_lo
	s_delay_alu instid0(VALU_DEP_4) | instskip(NEXT) | instid1(VALU_DEP_3)
	v_xor_b32_e32 v18, v14, v17
	v_add_co_u32 v3, vcc_lo, v3, v11
	s_delay_alu instid0(VALU_DEP_3) | instskip(SKIP_1) | instid1(VALU_DEP_3)
	v_add_co_ci_u32_e32 v19, vcc_lo, v10, v12, vcc_lo
	v_xor_b32_e32 v20, v15, v17
	v_mul_hi_u32 v21, v18, v3
	s_delay_alu instid0(VALU_DEP_3) | instskip(NEXT) | instid1(VALU_DEP_3)
	v_mad_u64_u32 v[10:11], null, v18, v19, 0
	v_mad_u64_u32 v[12:13], null, v20, v3, 0
	;; [unrolled: 1-line block ×3, first 2 shown]
	s_delay_alu instid0(VALU_DEP_3) | instskip(NEXT) | instid1(VALU_DEP_4)
	v_add_co_u32 v3, vcc_lo, v21, v10
	v_add_co_ci_u32_e32 v10, vcc_lo, 0, v11, vcc_lo
	s_delay_alu instid0(VALU_DEP_2) | instskip(NEXT) | instid1(VALU_DEP_2)
	v_add_co_u32 v3, vcc_lo, v3, v12
	v_add_co_ci_u32_e32 v3, vcc_lo, v10, v13, vcc_lo
	v_add_co_ci_u32_e32 v10, vcc_lo, 0, v15, vcc_lo
	s_delay_alu instid0(VALU_DEP_2) | instskip(NEXT) | instid1(VALU_DEP_2)
	v_add_co_u32 v3, vcc_lo, v3, v14
	v_add_co_ci_u32_e32 v12, vcc_lo, 0, v10, vcc_lo
	s_delay_alu instid0(VALU_DEP_2) | instskip(SKIP_1) | instid1(VALU_DEP_3)
	v_mul_lo_u32 v13, s5, v3
	v_mad_u64_u32 v[10:11], null, s4, v3, 0
	v_mul_lo_u32 v14, s4, v12
	s_delay_alu instid0(VALU_DEP_2) | instskip(NEXT) | instid1(VALU_DEP_2)
	v_sub_co_u32 v10, vcc_lo, v18, v10
	v_add3_u32 v11, v11, v14, v13
	s_delay_alu instid0(VALU_DEP_1) | instskip(NEXT) | instid1(VALU_DEP_1)
	v_sub_nc_u32_e32 v13, v20, v11
	v_subrev_co_ci_u32_e64 v13, s0, s5, v13, vcc_lo
	v_add_co_u32 v14, s0, v3, 2
	s_delay_alu instid0(VALU_DEP_1) | instskip(SKIP_3) | instid1(VALU_DEP_3)
	v_add_co_ci_u32_e64 v15, s0, 0, v12, s0
	v_sub_co_u32 v18, s0, v10, s4
	v_sub_co_ci_u32_e32 v11, vcc_lo, v20, v11, vcc_lo
	v_subrev_co_ci_u32_e64 v13, s0, 0, v13, s0
	v_cmp_le_u32_e32 vcc_lo, s4, v18
	s_delay_alu instid0(VALU_DEP_3) | instskip(SKIP_1) | instid1(VALU_DEP_4)
	v_cmp_eq_u32_e64 s0, s5, v11
	v_cndmask_b32_e64 v18, 0, -1, vcc_lo
	v_cmp_le_u32_e32 vcc_lo, s5, v13
	v_cndmask_b32_e64 v19, 0, -1, vcc_lo
	v_cmp_le_u32_e32 vcc_lo, s4, v10
	;; [unrolled: 2-line block ×3, first 2 shown]
	v_cndmask_b32_e64 v20, 0, -1, vcc_lo
	v_cmp_eq_u32_e32 vcc_lo, s5, v13
	s_delay_alu instid0(VALU_DEP_2) | instskip(SKIP_3) | instid1(VALU_DEP_3)
	v_cndmask_b32_e64 v10, v20, v10, s0
	v_cndmask_b32_e32 v13, v19, v18, vcc_lo
	v_add_co_u32 v18, vcc_lo, v3, 1
	v_add_co_ci_u32_e32 v19, vcc_lo, 0, v12, vcc_lo
	v_cmp_ne_u32_e32 vcc_lo, 0, v13
	s_delay_alu instid0(VALU_DEP_2) | instskip(NEXT) | instid1(VALU_DEP_4)
	v_cndmask_b32_e32 v11, v19, v15, vcc_lo
	v_cndmask_b32_e32 v13, v18, v14, vcc_lo
	v_cmp_ne_u32_e32 vcc_lo, 0, v10
	v_xor_b32_e32 v10, s2, v17
	s_delay_alu instid0(VALU_DEP_3) | instskip(SKIP_2) | instid1(VALU_DEP_3)
	v_cndmask_b32_e32 v3, v3, v13, vcc_lo
	v_cndmask_b32_e32 v11, v12, v11, vcc_lo
	v_xor_b32_e32 v12, s3, v17
	v_xor_b32_e32 v3, v3, v10
	s_delay_alu instid0(VALU_DEP_2) | instskip(NEXT) | instid1(VALU_DEP_2)
	v_xor_b32_e32 v11, v11, v12
	v_sub_co_u32 v10, vcc_lo, v3, v10
	s_delay_alu instid0(VALU_DEP_2)
	v_sub_co_ci_u32_e32 v11, vcc_lo, v11, v12, vcc_lo
.LBB4_9:                                ;   in Loop: Header=BB4_3 Depth=1
	s_and_not1_saveexec_b32 s0, s1
	s_cbranch_execz .LBB4_11
; %bb.10:                               ;   in Loop: Header=BB4_3 Depth=1
	v_cvt_f32_u32_e32 v3, s29
	s_sub_i32 s1, 0, s29
	s_delay_alu instid0(VALU_DEP_1) | instskip(SKIP_2) | instid1(VALU_DEP_1)
	v_rcp_iflag_f32_e32 v3, v3
	s_waitcnt_depctr 0xfff
	v_mul_f32_e32 v3, 0x4f7ffffe, v3
	v_cvt_u32_f32_e32 v3, v3
	s_delay_alu instid0(VALU_DEP_1) | instskip(NEXT) | instid1(VALU_DEP_1)
	v_mul_lo_u32 v10, s1, v3
	v_mul_hi_u32 v10, v3, v10
	s_delay_alu instid0(VALU_DEP_1) | instskip(NEXT) | instid1(VALU_DEP_1)
	v_add_nc_u32_e32 v3, v3, v10
	v_mul_hi_u32 v3, v8, v3
	s_delay_alu instid0(VALU_DEP_1) | instskip(SKIP_1) | instid1(VALU_DEP_2)
	v_mul_lo_u32 v10, v3, s29
	v_add_nc_u32_e32 v11, 1, v3
	v_sub_nc_u32_e32 v10, v8, v10
	s_delay_alu instid0(VALU_DEP_1) | instskip(SKIP_1) | instid1(VALU_DEP_2)
	v_subrev_nc_u32_e32 v12, s29, v10
	v_cmp_le_u32_e32 vcc_lo, s29, v10
	v_dual_cndmask_b32 v10, v10, v12 :: v_dual_cndmask_b32 v3, v3, v11
	s_delay_alu instid0(VALU_DEP_1) | instskip(NEXT) | instid1(VALU_DEP_2)
	v_cmp_le_u32_e32 vcc_lo, s29, v10
	v_add_nc_u32_e32 v11, 1, v3
	s_delay_alu instid0(VALU_DEP_1)
	v_dual_cndmask_b32 v10, v3, v11 :: v_dual_mov_b32 v11, v2
.LBB4_11:                               ;   in Loop: Header=BB4_3 Depth=1
	s_or_b32 exec_lo, exec_lo, s0
	s_delay_alu instid0(VALU_DEP_1) | instskip(SKIP_1) | instid1(VALU_DEP_1)
	v_or_b32_e32 v3, s30, v11
                                        ; implicit-def: $vgpr12_vgpr13
	s_mov_b32 s0, exec_lo
	v_cmpx_ne_u64_e32 0, v[2:3]
	s_xor_b32 s1, exec_lo, s0
	s_cbranch_execz .LBB4_13
; %bb.12:                               ;   in Loop: Header=BB4_3 Depth=1
	s_add_u32 s4, s19, s30
	s_mov_b32 s2, s30
	s_mov_b32 s3, s30
	s_addc_u32 s5, s30, s30
	s_delay_alu instid0(SALU_CYCLE_1) | instskip(NEXT) | instid1(SALU_CYCLE_1)
	s_xor_b64 s[4:5], s[4:5], s[2:3]
	v_cvt_f32_u32_e32 v3, s4
	v_cvt_f32_u32_e32 v12, s5
	s_sub_u32 s0, 0, s4
	s_subb_u32 s50, 0, s5
	s_delay_alu instid0(VALU_DEP_1) | instskip(NEXT) | instid1(VALU_DEP_1)
	v_fmac_f32_e32 v3, 0x4f800000, v12
	v_rcp_f32_e32 v3, v3
	s_waitcnt_depctr 0xfff
	v_mul_f32_e32 v3, 0x5f7ffffc, v3
	s_delay_alu instid0(VALU_DEP_1) | instskip(NEXT) | instid1(VALU_DEP_1)
	v_mul_f32_e32 v12, 0x2f800000, v3
	v_trunc_f32_e32 v12, v12
	s_delay_alu instid0(VALU_DEP_1) | instskip(SKIP_1) | instid1(VALU_DEP_2)
	v_fmac_f32_e32 v3, 0xcf800000, v12
	v_cvt_u32_f32_e32 v12, v12
	v_cvt_u32_f32_e32 v3, v3
	s_delay_alu instid0(VALU_DEP_2) | instskip(NEXT) | instid1(VALU_DEP_2)
	v_mul_lo_u32 v13, s0, v12
	v_mul_hi_u32 v14, s0, v3
	v_mul_lo_u32 v15, s50, v3
	s_delay_alu instid0(VALU_DEP_2) | instskip(SKIP_1) | instid1(VALU_DEP_2)
	v_add_nc_u32_e32 v13, v14, v13
	v_mul_lo_u32 v14, s0, v3
	v_add_nc_u32_e32 v13, v13, v15
	s_delay_alu instid0(VALU_DEP_2) | instskip(NEXT) | instid1(VALU_DEP_2)
	v_mul_hi_u32 v15, v3, v14
	v_mul_lo_u32 v17, v3, v13
	v_mul_hi_u32 v18, v3, v13
	v_mul_hi_u32 v19, v12, v14
	v_mul_lo_u32 v14, v12, v14
	v_mul_hi_u32 v20, v12, v13
	v_mul_lo_u32 v13, v12, v13
	v_add_co_u32 v15, vcc_lo, v15, v17
	v_add_co_ci_u32_e32 v17, vcc_lo, 0, v18, vcc_lo
	s_delay_alu instid0(VALU_DEP_2) | instskip(NEXT) | instid1(VALU_DEP_2)
	v_add_co_u32 v14, vcc_lo, v15, v14
	v_add_co_ci_u32_e32 v14, vcc_lo, v17, v19, vcc_lo
	v_add_co_ci_u32_e32 v15, vcc_lo, 0, v20, vcc_lo
	v_ashrrev_i32_e32 v19, 31, v11
	s_delay_alu instid0(VALU_DEP_3) | instskip(NEXT) | instid1(VALU_DEP_3)
	v_add_co_u32 v13, vcc_lo, v14, v13
	v_add_co_ci_u32_e32 v14, vcc_lo, 0, v15, vcc_lo
	s_delay_alu instid0(VALU_DEP_2) | instskip(NEXT) | instid1(VALU_DEP_2)
	v_add_co_u32 v3, vcc_lo, v3, v13
	v_add_co_ci_u32_e32 v12, vcc_lo, v12, v14, vcc_lo
	s_delay_alu instid0(VALU_DEP_2) | instskip(SKIP_1) | instid1(VALU_DEP_3)
	v_mul_hi_u32 v13, s0, v3
	v_mul_lo_u32 v15, s50, v3
	v_mul_lo_u32 v14, s0, v12
	s_delay_alu instid0(VALU_DEP_1) | instskip(SKIP_1) | instid1(VALU_DEP_2)
	v_add_nc_u32_e32 v13, v13, v14
	v_mul_lo_u32 v14, s0, v3
	v_add_nc_u32_e32 v13, v13, v15
	s_delay_alu instid0(VALU_DEP_2) | instskip(NEXT) | instid1(VALU_DEP_2)
	v_mul_hi_u32 v15, v3, v14
	v_mul_lo_u32 v17, v3, v13
	v_mul_hi_u32 v18, v3, v13
	v_mul_hi_u32 v20, v12, v14
	v_mul_lo_u32 v14, v12, v14
	v_mul_hi_u32 v21, v12, v13
	v_mul_lo_u32 v13, v12, v13
	v_add_co_u32 v15, vcc_lo, v15, v17
	v_add_co_ci_u32_e32 v17, vcc_lo, 0, v18, vcc_lo
	s_delay_alu instid0(VALU_DEP_2) | instskip(NEXT) | instid1(VALU_DEP_2)
	v_add_co_u32 v14, vcc_lo, v15, v14
	v_add_co_ci_u32_e32 v14, vcc_lo, v17, v20, vcc_lo
	v_add_co_ci_u32_e32 v15, vcc_lo, 0, v21, vcc_lo
	v_add_co_u32 v17, vcc_lo, v10, v19
	v_add_co_ci_u32_e32 v18, vcc_lo, v11, v19, vcc_lo
	s_delay_alu instid0(VALU_DEP_4) | instskip(NEXT) | instid1(VALU_DEP_4)
	v_add_co_u32 v13, vcc_lo, v14, v13
	v_add_co_ci_u32_e32 v14, vcc_lo, 0, v15, vcc_lo
	s_delay_alu instid0(VALU_DEP_4) | instskip(NEXT) | instid1(VALU_DEP_3)
	v_xor_b32_e32 v20, v17, v19
	v_add_co_u32 v3, vcc_lo, v3, v13
	s_delay_alu instid0(VALU_DEP_3) | instskip(SKIP_1) | instid1(VALU_DEP_3)
	v_add_co_ci_u32_e32 v21, vcc_lo, v12, v14, vcc_lo
	v_xor_b32_e32 v22, v18, v19
	v_mul_hi_u32 v23, v20, v3
	s_delay_alu instid0(VALU_DEP_3) | instskip(NEXT) | instid1(VALU_DEP_3)
	v_mad_u64_u32 v[12:13], null, v20, v21, 0
	v_mad_u64_u32 v[14:15], null, v22, v3, 0
	;; [unrolled: 1-line block ×3, first 2 shown]
	s_delay_alu instid0(VALU_DEP_3) | instskip(NEXT) | instid1(VALU_DEP_4)
	v_add_co_u32 v3, vcc_lo, v23, v12
	v_add_co_ci_u32_e32 v12, vcc_lo, 0, v13, vcc_lo
	s_delay_alu instid0(VALU_DEP_2) | instskip(NEXT) | instid1(VALU_DEP_2)
	v_add_co_u32 v3, vcc_lo, v3, v14
	v_add_co_ci_u32_e32 v3, vcc_lo, v12, v15, vcc_lo
	v_add_co_ci_u32_e32 v12, vcc_lo, 0, v18, vcc_lo
	s_delay_alu instid0(VALU_DEP_2) | instskip(NEXT) | instid1(VALU_DEP_2)
	v_add_co_u32 v3, vcc_lo, v3, v17
	v_add_co_ci_u32_e32 v14, vcc_lo, 0, v12, vcc_lo
	s_delay_alu instid0(VALU_DEP_2) | instskip(SKIP_1) | instid1(VALU_DEP_3)
	v_mul_lo_u32 v15, s5, v3
	v_mad_u64_u32 v[12:13], null, s4, v3, 0
	v_mul_lo_u32 v17, s4, v14
	s_delay_alu instid0(VALU_DEP_2) | instskip(NEXT) | instid1(VALU_DEP_2)
	v_sub_co_u32 v12, vcc_lo, v20, v12
	v_add3_u32 v13, v13, v17, v15
	s_delay_alu instid0(VALU_DEP_1) | instskip(NEXT) | instid1(VALU_DEP_1)
	v_sub_nc_u32_e32 v15, v22, v13
	v_subrev_co_ci_u32_e64 v15, s0, s5, v15, vcc_lo
	v_add_co_u32 v17, s0, v3, 2
	s_delay_alu instid0(VALU_DEP_1) | instskip(SKIP_3) | instid1(VALU_DEP_3)
	v_add_co_ci_u32_e64 v18, s0, 0, v14, s0
	v_sub_co_u32 v20, s0, v12, s4
	v_sub_co_ci_u32_e32 v13, vcc_lo, v22, v13, vcc_lo
	v_subrev_co_ci_u32_e64 v15, s0, 0, v15, s0
	v_cmp_le_u32_e32 vcc_lo, s4, v20
	s_delay_alu instid0(VALU_DEP_3) | instskip(SKIP_1) | instid1(VALU_DEP_4)
	v_cmp_eq_u32_e64 s0, s5, v13
	v_cndmask_b32_e64 v20, 0, -1, vcc_lo
	v_cmp_le_u32_e32 vcc_lo, s5, v15
	v_cndmask_b32_e64 v21, 0, -1, vcc_lo
	v_cmp_le_u32_e32 vcc_lo, s4, v12
	;; [unrolled: 2-line block ×3, first 2 shown]
	v_cndmask_b32_e64 v22, 0, -1, vcc_lo
	v_cmp_eq_u32_e32 vcc_lo, s5, v15
	s_delay_alu instid0(VALU_DEP_2) | instskip(SKIP_3) | instid1(VALU_DEP_3)
	v_cndmask_b32_e64 v12, v22, v12, s0
	v_cndmask_b32_e32 v15, v21, v20, vcc_lo
	v_add_co_u32 v20, vcc_lo, v3, 1
	v_add_co_ci_u32_e32 v21, vcc_lo, 0, v14, vcc_lo
	v_cmp_ne_u32_e32 vcc_lo, 0, v15
	s_delay_alu instid0(VALU_DEP_2) | instskip(NEXT) | instid1(VALU_DEP_4)
	v_cndmask_b32_e32 v13, v21, v18, vcc_lo
	v_cndmask_b32_e32 v15, v20, v17, vcc_lo
	v_cmp_ne_u32_e32 vcc_lo, 0, v12
	v_xor_b32_e32 v12, s2, v19
	s_delay_alu instid0(VALU_DEP_3) | instskip(SKIP_2) | instid1(VALU_DEP_3)
	v_cndmask_b32_e32 v3, v3, v15, vcc_lo
	v_cndmask_b32_e32 v13, v14, v13, vcc_lo
	v_xor_b32_e32 v14, s3, v19
	v_xor_b32_e32 v3, v3, v12
	s_delay_alu instid0(VALU_DEP_2) | instskip(NEXT) | instid1(VALU_DEP_2)
	v_xor_b32_e32 v13, v13, v14
	v_sub_co_u32 v12, vcc_lo, v3, v12
	s_delay_alu instid0(VALU_DEP_2)
	v_sub_co_ci_u32_e32 v13, vcc_lo, v13, v14, vcc_lo
.LBB4_13:                               ;   in Loop: Header=BB4_3 Depth=1
	s_and_not1_saveexec_b32 s0, s1
	s_cbranch_execz .LBB4_15
; %bb.14:                               ;   in Loop: Header=BB4_3 Depth=1
	v_cvt_f32_u32_e32 v3, s19
	s_sub_i32 s1, 0, s19
	s_delay_alu instid0(VALU_DEP_1) | instskip(SKIP_2) | instid1(VALU_DEP_1)
	v_rcp_iflag_f32_e32 v3, v3
	s_waitcnt_depctr 0xfff
	v_mul_f32_e32 v3, 0x4f7ffffe, v3
	v_cvt_u32_f32_e32 v3, v3
	s_delay_alu instid0(VALU_DEP_1) | instskip(NEXT) | instid1(VALU_DEP_1)
	v_mul_lo_u32 v12, s1, v3
	v_mul_hi_u32 v12, v3, v12
	s_delay_alu instid0(VALU_DEP_1) | instskip(NEXT) | instid1(VALU_DEP_1)
	v_add_nc_u32_e32 v3, v3, v12
	v_mul_hi_u32 v3, v10, v3
	s_delay_alu instid0(VALU_DEP_1) | instskip(SKIP_1) | instid1(VALU_DEP_2)
	v_mul_lo_u32 v12, v3, s19
	v_add_nc_u32_e32 v13, 1, v3
	v_sub_nc_u32_e32 v12, v10, v12
	s_delay_alu instid0(VALU_DEP_1) | instskip(SKIP_1) | instid1(VALU_DEP_2)
	v_subrev_nc_u32_e32 v14, s19, v12
	v_cmp_le_u32_e32 vcc_lo, s19, v12
	v_dual_cndmask_b32 v12, v12, v14 :: v_dual_cndmask_b32 v3, v3, v13
	s_delay_alu instid0(VALU_DEP_1) | instskip(NEXT) | instid1(VALU_DEP_2)
	v_cmp_le_u32_e32 vcc_lo, s19, v12
	v_add_nc_u32_e32 v13, 1, v3
	s_delay_alu instid0(VALU_DEP_1)
	v_dual_cndmask_b32 v12, v3, v13 :: v_dual_mov_b32 v13, v2
.LBB4_15:                               ;   in Loop: Header=BB4_3 Depth=1
	s_or_b32 exec_lo, exec_lo, s0
	v_mul_lo_u32 v3, v11, s29
	v_mul_lo_u32 v19, v10, s28
	v_mad_u64_u32 v[14:15], null, v10, s29, 0
	v_mul_lo_u32 v20, v13, s19
	v_mul_lo_u32 v21, v12, s30
	v_mad_u64_u32 v[17:18], null, v12, s19, 0
	v_mul_lo_u32 v23, v8, s26
	v_add3_u32 v3, v15, v19, v3
	v_sub_co_u32 v14, vcc_lo, v8, v14
	s_delay_alu instid0(VALU_DEP_4) | instskip(NEXT) | instid1(VALU_DEP_3)
	v_add3_u32 v22, v18, v21, v20
	v_sub_co_ci_u32_e32 v15, vcc_lo, v9, v3, vcc_lo
	v_sub_co_u32 v10, vcc_lo, v10, v17
	s_delay_alu instid0(VALU_DEP_3) | instskip(SKIP_2) | instid1(VALU_DEP_3)
	v_sub_co_ci_u32_e32 v11, vcc_lo, v11, v22, vcc_lo
	v_mul_lo_u32 v3, v9, s27
	v_mad_u64_u32 v[18:19], null, v8, s27, 0
	v_mul_lo_u32 v24, v11, s13
	v_mul_lo_u32 v25, v10, s31
	v_mad_u64_u32 v[8:9], null, v10, s13, 0
	v_mul_lo_u32 v26, v15, s36
	v_mul_lo_u32 v27, v14, s35
	v_mad_u64_u32 v[20:21], null, v14, s36, 0
	v_add3_u32 v3, v19, v23, v3
	v_sub_co_u32 v18, vcc_lo, v4, v18
	s_delay_alu instid0(VALU_DEP_2)
	v_sub_co_ci_u32_e32 v19, vcc_lo, v5, v3, vcc_lo
	v_add3_u32 v3, v9, v25, v24
	v_add3_u32 v23, v21, v27, v26
	v_mul_lo_u32 v24, v22, s43
	v_mad_u64_u32 v[21:22], null, v17, s43, v[10:11]
	v_mul_lo_u32 v17, v17, s42
	v_sub_co_u32 v8, vcc_lo, v8, s34
	v_subrev_co_ci_u32_e32 v9, vcc_lo, s33, v3, vcc_lo
	v_sub_co_u32 v10, vcc_lo, v20, s38
	v_subrev_co_ci_u32_e32 v11, vcc_lo, s37, v23, vcc_lo
	v_add3_u32 v17, v24, v22, v17
	s_delay_alu instid0(VALU_DEP_4)
	v_mad_u64_u32 v[22:23], null, v12, s10, v[8:9]
	v_mul_lo_u32 v20, v12, s11
	v_mul_lo_u32 v26, v13, s10
	;; [unrolled: 1-line block ×4, first 2 shown]
	v_mad_u64_u32 v[12:13], null, v18, s40, 0
	v_mul_lo_u32 v17, v17, s29
	v_mad_u64_u32 v[24:25], null, v21, s29, v[14:15]
	v_add3_u32 v20, v26, v23, v20
	v_mul_lo_u32 v21, v21, s28
	v_mad_u64_u32 v[14:15], null, v22, s14, v[10:11]
	v_mul_lo_u32 v22, v22, s15
	s_delay_alu instid0(VALU_DEP_4) | instskip(SKIP_3) | instid1(VALU_DEP_3)
	v_mul_lo_u32 v20, v20, s14
	v_add3_u32 v3, v13, v27, v3
	v_sub_co_u32 v12, vcc_lo, v12, s12
	v_add3_u32 v17, v17, v25, v21
	v_subrev_co_ci_u32_e32 v13, vcc_lo, s41, v3, vcc_lo
	v_add3_u32 v15, v20, v15, v22
	s_delay_alu instid0(VALU_DEP_3)
	v_mul_lo_u32 v3, v17, s27
	v_mul_lo_u32 v22, v24, s26
	v_mad_u64_u32 v[20:21], null, v24, s27, v[18:19]
	v_mul_lo_u32 v19, v14, s25
	v_mul_lo_u32 v15, v15, s24
	v_mad_u64_u32 v[17:18], null, v14, s24, v[12:13]
	s_delay_alu instid0(VALU_DEP_4) | instskip(NEXT) | instid1(VALU_DEP_2)
	v_add3_u32 v21, v3, v21, v22
	v_add3_u32 v18, v15, v18, v19
	s_delay_alu instid0(VALU_DEP_2) | instskip(NEXT) | instid1(VALU_DEP_2)
	v_lshlrev_b64 v[14:15], 3, v[20:21]
	v_lshlrev_b64 v[17:18], 3, v[17:18]
	s_delay_alu instid0(VALU_DEP_2) | instskip(NEXT) | instid1(VALU_DEP_3)
	v_add_co_u32 v6, vcc_lo, v6, v14
	v_add_co_ci_u32_e32 v7, vcc_lo, v7, v15, vcc_lo
	s_delay_alu instid0(VALU_DEP_3) | instskip(NEXT) | instid1(VALU_DEP_4)
	v_add_co_u32 v0, vcc_lo, v0, v17
	v_add_co_ci_u32_e32 v1, vcc_lo, v1, v18, vcc_lo
	s_and_not1_b32 vcc_lo, exec_lo, s44
	s_cbranch_vccnz .LBB4_2
; %bb.16:                               ;   in Loop: Header=BB4_3 Depth=1
	s_mov_b32 s3, 0
	s_mov_b32 s4, 0
	s_branch .LBB4_18
.LBB4_17:                               ;   in Loop: Header=BB4_18 Depth=2
	s_add_i32 s4, s4, 1
	s_add_i32 s3, s3, s49
	s_cmp_eq_u32 s4, s7
	s_cbranch_scc1 .LBB4_2
.LBB4_18:                               ;   Parent Loop BB4_3 Depth=1
                                        ; =>  This Loop Header: Depth=2
                                        ;       Child Loop BB4_21 Depth 3
                                        ;         Child Loop BB4_24 Depth 4
	s_and_not1_b32 vcc_lo, exec_lo, s45
	s_cbranch_vccnz .LBB4_17
; %bb.19:                               ;   in Loop: Header=BB4_18 Depth=2
	s_mul_i32 s0, s4, s16
	s_mov_b32 s5, 0
	s_ashr_i32 s1, s0, 31
	v_add_co_u32 v14, vcc_lo, v8, s0
	v_add_co_ci_u32_e32 v15, vcc_lo, s1, v9, vcc_lo
	s_mov_b32 s50, s3
	s_delay_alu instid0(VALU_DEP_1)
	v_cmp_lt_i64_e64 s0, -1, v[14:15]
	v_cmp_gt_i64_e64 s1, s[10:11], v[14:15]
	s_branch .LBB4_21
.LBB4_20:                               ;   in Loop: Header=BB4_21 Depth=3
	s_set_inst_prefetch_distance 0x2
	s_add_i32 s5, s5, 1
	s_add_i32 s50, s50, s6
	s_cmp_eq_u32 s5, s8
	s_cbranch_scc1 .LBB4_17
.LBB4_21:                               ;   Parent Loop BB4_3 Depth=1
                                        ;     Parent Loop BB4_18 Depth=2
                                        ; =>    This Loop Header: Depth=3
                                        ;         Child Loop BB4_24 Depth 4
	s_and_not1_b32 vcc_lo, exec_lo, s47
	s_cbranch_vccnz .LBB4_20
; %bb.22:                               ;   in Loop: Header=BB4_21 Depth=3
	s_mul_i32 s2, s5, s17
	s_mov_b32 s53, s9
	s_ashr_i32 s51, s2, 31
	v_add_co_u32 v14, vcc_lo, v10, s2
	v_add_co_ci_u32_e32 v15, vcc_lo, s51, v11, vcc_lo
	s_mov_b32 s51, 0
	s_delay_alu instid0(VALU_DEP_1) | instskip(SKIP_1) | instid1(VALU_DEP_2)
	v_cmp_lt_i64_e64 s2, -1, v[14:15]
	v_cmp_gt_i64_e32 vcc_lo, s[14:15], v[14:15]
	s_and_b32 s52, s0, s2
	s_set_inst_prefetch_distance 0x1
	s_branch .LBB4_24
	.p2align	6
.LBB4_23:                               ;   in Loop: Header=BB4_24 Depth=4
	s_or_b32 exec_lo, exec_lo, s54
	s_waitcnt vmcnt(0)
	global_store_b64 v[6:7], v[14:15], off
	v_add_co_u32 v6, s2, v6, s22
	s_delay_alu instid0(VALU_DEP_1)
	v_add_co_ci_u32_e64 v7, s2, s23, v7, s2
	s_add_i32 s53, s53, -1
	s_add_i32 s51, s51, s18
	s_cmp_eq_u32 s53, 0
	s_cbranch_scc1 .LBB4_20
.LBB4_24:                               ;   Parent Loop BB4_3 Depth=1
                                        ;     Parent Loop BB4_18 Depth=2
                                        ;       Parent Loop BB4_21 Depth=3
                                        ; =>      This Inner Loop Header: Depth=4
	s_ashr_i32 s54, s51, 31
	v_add_co_u32 v14, s2, v12, s51
	s_delay_alu instid0(VALU_DEP_1) | instskip(NEXT) | instid1(VALU_DEP_1)
	v_add_co_ci_u32_e64 v15, s2, s54, v13, s2
	v_cmp_lt_i64_e64 s2, -1, v[14:15]
	s_delay_alu instid0(VALU_DEP_1)
	s_and_b32 s54, s52, s2
	v_cmp_gt_i64_e64 s2, s[24:25], v[14:15]
	s_and_b32 s54, s1, s54
	v_mov_b32_e32 v14, 0
	v_mov_b32_e32 v15, 0
	s_and_b32 s54, s54, vcc_lo
	s_delay_alu instid0(VALU_DEP_3) | instid1(SALU_CYCLE_1)
	s_and_b32 s2, s54, s2
	s_delay_alu instid0(SALU_CYCLE_1)
	s_and_saveexec_b32 s54, s2
	s_cbranch_execz .LBB4_23
; %bb.25:                               ;   in Loop: Header=BB4_24 Depth=4
	s_add_i32 s56, s50, s51
	s_delay_alu instid0(SALU_CYCLE_1) | instskip(NEXT) | instid1(SALU_CYCLE_1)
	s_ashr_i32 s57, s56, 31
	s_lshl_b64 s[56:57], s[56:57], 3
	s_delay_alu instid0(SALU_CYCLE_1) | instskip(NEXT) | instid1(VALU_DEP_1)
	v_add_co_u32 v14, s2, v0, s56
	v_add_co_ci_u32_e64 v15, s2, s57, v1, s2
	global_load_b64 v[14:15], v[14:15], off
	s_branch .LBB4_23
.LBB4_26:
	s_nop 0
	s_sendmsg sendmsg(MSG_DEALLOC_VGPRS)
	s_endpgm
	.section	.rodata,"a",@progbits
	.p2align	6, 0x0
	.amdhsa_kernel _ZN2at6native14vol2col_kernelIdEEvlPKT_iiiiiiiiiiiiiiiiiiPS2_
		.amdhsa_group_segment_fixed_size 0
		.amdhsa_private_segment_fixed_size 0
		.amdhsa_kernarg_size 352
		.amdhsa_user_sgpr_count 15
		.amdhsa_user_sgpr_dispatch_ptr 0
		.amdhsa_user_sgpr_queue_ptr 0
		.amdhsa_user_sgpr_kernarg_segment_ptr 1
		.amdhsa_user_sgpr_dispatch_id 0
		.amdhsa_user_sgpr_private_segment_size 0
		.amdhsa_wavefront_size32 1
		.amdhsa_uses_dynamic_stack 0
		.amdhsa_enable_private_segment 0
		.amdhsa_system_sgpr_workgroup_id_x 1
		.amdhsa_system_sgpr_workgroup_id_y 0
		.amdhsa_system_sgpr_workgroup_id_z 0
		.amdhsa_system_sgpr_workgroup_info 0
		.amdhsa_system_vgpr_workitem_id 0
		.amdhsa_next_free_vgpr 28
		.amdhsa_next_free_sgpr 58
		.amdhsa_reserve_vcc 1
		.amdhsa_float_round_mode_32 0
		.amdhsa_float_round_mode_16_64 0
		.amdhsa_float_denorm_mode_32 3
		.amdhsa_float_denorm_mode_16_64 3
		.amdhsa_dx10_clamp 1
		.amdhsa_ieee_mode 1
		.amdhsa_fp16_overflow 0
		.amdhsa_workgroup_processor_mode 1
		.amdhsa_memory_ordered 1
		.amdhsa_forward_progress 0
		.amdhsa_shared_vgpr_count 0
		.amdhsa_exception_fp_ieee_invalid_op 0
		.amdhsa_exception_fp_denorm_src 0
		.amdhsa_exception_fp_ieee_div_zero 0
		.amdhsa_exception_fp_ieee_overflow 0
		.amdhsa_exception_fp_ieee_underflow 0
		.amdhsa_exception_fp_ieee_inexact 0
		.amdhsa_exception_int_div_zero 0
	.end_amdhsa_kernel
	.section	.text._ZN2at6native14vol2col_kernelIdEEvlPKT_iiiiiiiiiiiiiiiiiiPS2_,"axG",@progbits,_ZN2at6native14vol2col_kernelIdEEvlPKT_iiiiiiiiiiiiiiiiiiPS2_,comdat
.Lfunc_end4:
	.size	_ZN2at6native14vol2col_kernelIdEEvlPKT_iiiiiiiiiiiiiiiiiiPS2_, .Lfunc_end4-_ZN2at6native14vol2col_kernelIdEEvlPKT_iiiiiiiiiiiiiiiiiiPS2_
                                        ; -- End function
	.section	.AMDGPU.csdata,"",@progbits
; Kernel info:
; codeLenInByte = 4244
; NumSgprs: 60
; NumVgprs: 28
; ScratchSize: 0
; MemoryBound: 0
; FloatMode: 240
; IeeeMode: 1
; LDSByteSize: 0 bytes/workgroup (compile time only)
; SGPRBlocks: 7
; VGPRBlocks: 3
; NumSGPRsForWavesPerEU: 60
; NumVGPRsForWavesPerEU: 28
; Occupancy: 16
; WaveLimiterHint : 0
; COMPUTE_PGM_RSRC2:SCRATCH_EN: 0
; COMPUTE_PGM_RSRC2:USER_SGPR: 15
; COMPUTE_PGM_RSRC2:TRAP_HANDLER: 0
; COMPUTE_PGM_RSRC2:TGID_X_EN: 1
; COMPUTE_PGM_RSRC2:TGID_Y_EN: 0
; COMPUTE_PGM_RSRC2:TGID_Z_EN: 0
; COMPUTE_PGM_RSRC2:TIDIG_COMP_CNT: 0
	.section	.text._ZN2at6native14vol2col_kernelIfEEvlPKT_iiiiiiiiiiiiiiiiiiPS2_,"axG",@progbits,_ZN2at6native14vol2col_kernelIfEEvlPKT_iiiiiiiiiiiiiiiiiiPS2_,comdat
	.protected	_ZN2at6native14vol2col_kernelIfEEvlPKT_iiiiiiiiiiiiiiiiiiPS2_ ; -- Begin function _ZN2at6native14vol2col_kernelIfEEvlPKT_iiiiiiiiiiiiiiiiiiPS2_
	.globl	_ZN2at6native14vol2col_kernelIfEEvlPKT_iiiiiiiiiiiiiiiiiiPS2_
	.p2align	8
	.type	_ZN2at6native14vol2col_kernelIfEEvlPKT_iiiiiiiiiiiiiiiiiiPS2_,@function
_ZN2at6native14vol2col_kernelIfEEvlPKT_iiiiiiiiiiiiiiiiiiPS2_: ; @_ZN2at6native14vol2col_kernelIfEEvlPKT_iiiiiiiiiiiiiiiiiiPS2_
; %bb.0:
	s_clause 0x1
	s_load_b32 s2, s[0:1], 0x6c
	s_load_b128 s[20:23], s[0:1], 0x0
	v_mov_b32_e32 v2, 0
	s_add_u32 s24, s0, 0x60
	s_addc_u32 s25, s1, 0
	s_delay_alu instid0(VALU_DEP_1) | instskip(SKIP_3) | instid1(VALU_DEP_1)
	v_mov_b32_e32 v1, v2
	s_waitcnt lgkmcnt(0)
	s_and_b32 s48, s2, 0xffff
	s_mov_b32 s2, exec_lo
	v_mad_u64_u32 v[4:5], null, s48, s15, v[0:1]
	s_delay_alu instid0(VALU_DEP_1)
	v_cmpx_gt_i64_e64 s[20:21], v[4:5]
	s_cbranch_execz .LBB5_26
; %bb.1:
	s_clause 0x1
	s_load_b512 s[4:19], s[0:1], 0x10
	s_load_b128 s[0:3], s[0:1], 0x50
	s_load_b32 s49, s[24:25], 0x0
	s_mov_b32 s46, 0
	s_waitcnt lgkmcnt(0)
	s_ashr_i32 s33, s10, 31
	s_mov_b32 s27, s1
	s_mul_i32 s45, s0, s19
	v_cvt_f32_u32_e32 v0, s27
	s_ashr_i32 s28, s0, 31
	s_mov_b32 s29, s0
	s_ashr_i32 s0, s9, 31
	s_mov_b32 s34, s10
	v_rcp_iflag_f32_e32 v0, v0
	s_mul_i32 s10, s8, s7
	s_ashr_i32 s35, s14, 31
	s_mov_b32 s36, s14
	s_ashr_i32 s37, s11, 31
	s_mov_b32 s38, s11
	s_mul_i32 s0, s10, s0
	s_mul_hi_u32 s11, s10, s9
	s_mul_hi_i32 s14, s8, s7
	s_add_i32 s0, s11, s0
	s_mul_i32 s14, s14, s9
	s_ashr_i32 s26, s1, 31
	s_ashr_i32 s30, s19, 31
	;; [unrolled: 1-line block ×4, first 2 shown]
	s_mov_b32 s40, s15
	s_ashr_i32 s41, s12, 31
	s_add_i32 s42, s0, s14
	s_ashr_i32 s11, s4, 31
	s_ashr_i32 s15, s5, 31
	;; [unrolled: 1-line block ×3, first 2 shown]
	s_cmp_gt_i32 s7, 0
	s_waitcnt_depctr 0xfff
	v_dual_mul_f32 v3, 0x4f7ffffe, v0 :: v_dual_mov_b32 v0, s22
	s_cselect_b32 s44, -1, 0
	s_cmp_gt_i32 s8, 0
	s_mul_i32 s0, s45, s1
	s_cselect_b32 s45, -1, 0
	s_cmp_gt_i32 s9, 0
	v_mov_b32_e32 v7, s3
	v_dual_mov_b32 v1, s23 :: v_dual_mov_b32 v6, s2
	v_cvt_u32_f32_e32 v14, v3
	s_cselect_b32 s47, -1, 0
	s_ashr_i32 s1, s0, 31
	s_mul_i32 s48, s49, s48
	s_mul_i32 s49, s16, s6
	;; [unrolled: 1-line block ×3, first 2 shown]
	s_mov_b32 s10, s4
	s_mov_b32 s14, s5
	;; [unrolled: 1-line block ×3, first 2 shown]
	s_lshl_b64 s[22:23], s[0:1], 2
	s_mul_i32 s49, s49, s5
	s_mul_i32 s6, s17, s6
	s_branch .LBB5_3
.LBB5_2:                                ;   in Loop: Header=BB5_3 Depth=1
	v_add_co_u32 v4, vcc_lo, v4, s48
	v_add_co_ci_u32_e32 v5, vcc_lo, 0, v5, vcc_lo
	s_delay_alu instid0(VALU_DEP_1) | instskip(SKIP_1) | instid1(SALU_CYCLE_1)
	v_cmp_le_i64_e32 vcc_lo, s[20:21], v[4:5]
	s_or_b32 s46, vcc_lo, s46
	s_and_not1_b32 exec_lo, exec_lo, s46
	s_cbranch_execz .LBB5_26
.LBB5_3:                                ; =>This Loop Header: Depth=1
                                        ;     Child Loop BB5_18 Depth 2
                                        ;       Child Loop BB5_21 Depth 3
                                        ;         Child Loop BB5_24 Depth 4
	v_or_b32_e32 v3, s26, v5
                                        ; implicit-def: $vgpr8_vgpr9
	s_mov_b32 s0, exec_lo
	s_delay_alu instid0(VALU_DEP_1)
	v_cmpx_ne_u64_e32 0, v[2:3]
	s_xor_b32 s1, exec_lo, s0
	s_cbranch_execz .LBB5_5
; %bb.4:                                ;   in Loop: Header=BB5_3 Depth=1
	s_add_u32 s4, s27, s26
	s_mov_b32 s2, s26
	s_mov_b32 s3, s26
	s_addc_u32 s5, s26, s26
	s_delay_alu instid0(SALU_CYCLE_1) | instskip(NEXT) | instid1(SALU_CYCLE_1)
	s_xor_b64 s[4:5], s[4:5], s[2:3]
	v_cvt_f32_u32_e32 v3, s4
	v_cvt_f32_u32_e32 v8, s5
	s_sub_u32 s0, 0, s4
	s_subb_u32 s50, 0, s5
	s_delay_alu instid0(VALU_DEP_1) | instskip(NEXT) | instid1(VALU_DEP_1)
	v_fmac_f32_e32 v3, 0x4f800000, v8
	v_rcp_f32_e32 v3, v3
	s_waitcnt_depctr 0xfff
	v_mul_f32_e32 v3, 0x5f7ffffc, v3
	s_delay_alu instid0(VALU_DEP_1) | instskip(NEXT) | instid1(VALU_DEP_1)
	v_mul_f32_e32 v8, 0x2f800000, v3
	v_trunc_f32_e32 v8, v8
	s_delay_alu instid0(VALU_DEP_1) | instskip(SKIP_1) | instid1(VALU_DEP_2)
	v_fmac_f32_e32 v3, 0xcf800000, v8
	v_cvt_u32_f32_e32 v8, v8
	v_cvt_u32_f32_e32 v3, v3
	s_delay_alu instid0(VALU_DEP_2) | instskip(NEXT) | instid1(VALU_DEP_2)
	v_mul_lo_u32 v9, s0, v8
	v_mul_hi_u32 v10, s0, v3
	v_mul_lo_u32 v11, s50, v3
	s_delay_alu instid0(VALU_DEP_2) | instskip(SKIP_1) | instid1(VALU_DEP_2)
	v_add_nc_u32_e32 v9, v10, v9
	v_mul_lo_u32 v10, s0, v3
	v_add_nc_u32_e32 v9, v9, v11
	s_delay_alu instid0(VALU_DEP_2) | instskip(NEXT) | instid1(VALU_DEP_2)
	v_mul_hi_u32 v11, v3, v10
	v_mul_lo_u32 v12, v3, v9
	v_mul_hi_u32 v13, v3, v9
	v_mul_hi_u32 v15, v8, v10
	v_mul_lo_u32 v10, v8, v10
	v_mul_hi_u32 v16, v8, v9
	v_mul_lo_u32 v9, v8, v9
	v_add_co_u32 v11, vcc_lo, v11, v12
	v_add_co_ci_u32_e32 v12, vcc_lo, 0, v13, vcc_lo
	s_delay_alu instid0(VALU_DEP_2) | instskip(NEXT) | instid1(VALU_DEP_2)
	v_add_co_u32 v10, vcc_lo, v11, v10
	v_add_co_ci_u32_e32 v10, vcc_lo, v12, v15, vcc_lo
	v_add_co_ci_u32_e32 v11, vcc_lo, 0, v16, vcc_lo
	v_ashrrev_i32_e32 v15, 31, v5
	s_delay_alu instid0(VALU_DEP_3) | instskip(NEXT) | instid1(VALU_DEP_3)
	v_add_co_u32 v9, vcc_lo, v10, v9
	v_add_co_ci_u32_e32 v10, vcc_lo, 0, v11, vcc_lo
	s_delay_alu instid0(VALU_DEP_2) | instskip(NEXT) | instid1(VALU_DEP_2)
	v_add_co_u32 v3, vcc_lo, v3, v9
	v_add_co_ci_u32_e32 v8, vcc_lo, v8, v10, vcc_lo
	s_delay_alu instid0(VALU_DEP_2) | instskip(SKIP_1) | instid1(VALU_DEP_3)
	v_mul_hi_u32 v9, s0, v3
	v_mul_lo_u32 v11, s50, v3
	v_mul_lo_u32 v10, s0, v8
	s_delay_alu instid0(VALU_DEP_1) | instskip(SKIP_1) | instid1(VALU_DEP_2)
	v_add_nc_u32_e32 v9, v9, v10
	v_mul_lo_u32 v10, s0, v3
	v_add_nc_u32_e32 v9, v9, v11
	s_delay_alu instid0(VALU_DEP_2) | instskip(NEXT) | instid1(VALU_DEP_2)
	v_mul_hi_u32 v11, v3, v10
	v_mul_lo_u32 v12, v3, v9
	v_mul_hi_u32 v13, v3, v9
	v_mul_hi_u32 v16, v8, v10
	v_mul_lo_u32 v10, v8, v10
	v_mul_hi_u32 v17, v8, v9
	v_mul_lo_u32 v9, v8, v9
	v_add_co_u32 v11, vcc_lo, v11, v12
	v_add_co_ci_u32_e32 v12, vcc_lo, 0, v13, vcc_lo
	s_delay_alu instid0(VALU_DEP_2) | instskip(NEXT) | instid1(VALU_DEP_2)
	v_add_co_u32 v10, vcc_lo, v11, v10
	v_add_co_ci_u32_e32 v10, vcc_lo, v12, v16, vcc_lo
	v_add_co_ci_u32_e32 v11, vcc_lo, 0, v17, vcc_lo
	v_add_co_u32 v12, vcc_lo, v4, v15
	v_add_co_ci_u32_e32 v13, vcc_lo, v5, v15, vcc_lo
	s_delay_alu instid0(VALU_DEP_4) | instskip(NEXT) | instid1(VALU_DEP_4)
	v_add_co_u32 v9, vcc_lo, v10, v9
	v_add_co_ci_u32_e32 v10, vcc_lo, 0, v11, vcc_lo
	s_delay_alu instid0(VALU_DEP_4) | instskip(NEXT) | instid1(VALU_DEP_3)
	v_xor_b32_e32 v16, v12, v15
	v_add_co_u32 v3, vcc_lo, v3, v9
	s_delay_alu instid0(VALU_DEP_3) | instskip(SKIP_1) | instid1(VALU_DEP_3)
	v_add_co_ci_u32_e32 v17, vcc_lo, v8, v10, vcc_lo
	v_xor_b32_e32 v18, v13, v15
	v_mul_hi_u32 v19, v16, v3
	s_delay_alu instid0(VALU_DEP_3) | instskip(NEXT) | instid1(VALU_DEP_3)
	v_mad_u64_u32 v[8:9], null, v16, v17, 0
	v_mad_u64_u32 v[10:11], null, v18, v3, 0
	;; [unrolled: 1-line block ×3, first 2 shown]
	s_delay_alu instid0(VALU_DEP_3) | instskip(NEXT) | instid1(VALU_DEP_4)
	v_add_co_u32 v3, vcc_lo, v19, v8
	v_add_co_ci_u32_e32 v8, vcc_lo, 0, v9, vcc_lo
	s_delay_alu instid0(VALU_DEP_2) | instskip(NEXT) | instid1(VALU_DEP_2)
	v_add_co_u32 v3, vcc_lo, v3, v10
	v_add_co_ci_u32_e32 v3, vcc_lo, v8, v11, vcc_lo
	v_add_co_ci_u32_e32 v8, vcc_lo, 0, v13, vcc_lo
	s_delay_alu instid0(VALU_DEP_2) | instskip(NEXT) | instid1(VALU_DEP_2)
	v_add_co_u32 v3, vcc_lo, v3, v12
	v_add_co_ci_u32_e32 v10, vcc_lo, 0, v8, vcc_lo
	s_delay_alu instid0(VALU_DEP_2) | instskip(SKIP_1) | instid1(VALU_DEP_3)
	v_mul_lo_u32 v11, s5, v3
	v_mad_u64_u32 v[8:9], null, s4, v3, 0
	v_mul_lo_u32 v12, s4, v10
	s_delay_alu instid0(VALU_DEP_2) | instskip(NEXT) | instid1(VALU_DEP_2)
	v_sub_co_u32 v8, vcc_lo, v16, v8
	v_add3_u32 v9, v9, v12, v11
	s_delay_alu instid0(VALU_DEP_1) | instskip(NEXT) | instid1(VALU_DEP_1)
	v_sub_nc_u32_e32 v11, v18, v9
	v_subrev_co_ci_u32_e64 v11, s0, s5, v11, vcc_lo
	v_add_co_u32 v12, s0, v3, 2
	s_delay_alu instid0(VALU_DEP_1) | instskip(SKIP_3) | instid1(VALU_DEP_3)
	v_add_co_ci_u32_e64 v13, s0, 0, v10, s0
	v_sub_co_u32 v16, s0, v8, s4
	v_sub_co_ci_u32_e32 v9, vcc_lo, v18, v9, vcc_lo
	v_subrev_co_ci_u32_e64 v11, s0, 0, v11, s0
	v_cmp_le_u32_e32 vcc_lo, s4, v16
	s_delay_alu instid0(VALU_DEP_3) | instskip(SKIP_1) | instid1(VALU_DEP_4)
	v_cmp_eq_u32_e64 s0, s5, v9
	v_cndmask_b32_e64 v16, 0, -1, vcc_lo
	v_cmp_le_u32_e32 vcc_lo, s5, v11
	v_cndmask_b32_e64 v17, 0, -1, vcc_lo
	v_cmp_le_u32_e32 vcc_lo, s4, v8
	;; [unrolled: 2-line block ×3, first 2 shown]
	v_cndmask_b32_e64 v18, 0, -1, vcc_lo
	v_cmp_eq_u32_e32 vcc_lo, s5, v11
	s_delay_alu instid0(VALU_DEP_2) | instskip(SKIP_3) | instid1(VALU_DEP_3)
	v_cndmask_b32_e64 v8, v18, v8, s0
	v_cndmask_b32_e32 v11, v17, v16, vcc_lo
	v_add_co_u32 v16, vcc_lo, v3, 1
	v_add_co_ci_u32_e32 v17, vcc_lo, 0, v10, vcc_lo
	v_cmp_ne_u32_e32 vcc_lo, 0, v11
	s_delay_alu instid0(VALU_DEP_2) | instskip(NEXT) | instid1(VALU_DEP_4)
	v_cndmask_b32_e32 v9, v17, v13, vcc_lo
	v_cndmask_b32_e32 v11, v16, v12, vcc_lo
	v_cmp_ne_u32_e32 vcc_lo, 0, v8
	v_xor_b32_e32 v8, s2, v15
	s_delay_alu instid0(VALU_DEP_3) | instskip(SKIP_2) | instid1(VALU_DEP_3)
	v_cndmask_b32_e32 v3, v3, v11, vcc_lo
	v_cndmask_b32_e32 v9, v10, v9, vcc_lo
	v_xor_b32_e32 v10, s3, v15
	v_xor_b32_e32 v3, v3, v8
	s_delay_alu instid0(VALU_DEP_2) | instskip(NEXT) | instid1(VALU_DEP_2)
	v_xor_b32_e32 v9, v9, v10
	v_sub_co_u32 v8, vcc_lo, v3, v8
	s_delay_alu instid0(VALU_DEP_2)
	v_sub_co_ci_u32_e32 v9, vcc_lo, v9, v10, vcc_lo
.LBB5_5:                                ;   in Loop: Header=BB5_3 Depth=1
	s_and_not1_saveexec_b32 s0, s1
	s_cbranch_execz .LBB5_7
; %bb.6:                                ;   in Loop: Header=BB5_3 Depth=1
	s_sub_i32 s1, 0, s27
	s_delay_alu instid0(SALU_CYCLE_1) | instskip(NEXT) | instid1(VALU_DEP_1)
	v_mul_lo_u32 v3, s1, v14
	v_mul_hi_u32 v3, v14, v3
	s_delay_alu instid0(VALU_DEP_1) | instskip(NEXT) | instid1(VALU_DEP_1)
	v_add_nc_u32_e32 v3, v14, v3
	v_mul_hi_u32 v3, v4, v3
	s_delay_alu instid0(VALU_DEP_1) | instskip(SKIP_1) | instid1(VALU_DEP_2)
	v_mul_lo_u32 v8, v3, s27
	v_add_nc_u32_e32 v9, 1, v3
	v_sub_nc_u32_e32 v8, v4, v8
	s_delay_alu instid0(VALU_DEP_1) | instskip(SKIP_1) | instid1(VALU_DEP_2)
	v_subrev_nc_u32_e32 v10, s27, v8
	v_cmp_le_u32_e32 vcc_lo, s27, v8
	v_dual_cndmask_b32 v8, v8, v10 :: v_dual_cndmask_b32 v3, v3, v9
	s_delay_alu instid0(VALU_DEP_1) | instskip(NEXT) | instid1(VALU_DEP_2)
	v_cmp_le_u32_e32 vcc_lo, s27, v8
	v_add_nc_u32_e32 v9, 1, v3
	s_delay_alu instid0(VALU_DEP_1)
	v_dual_cndmask_b32 v8, v3, v9 :: v_dual_mov_b32 v9, v2
.LBB5_7:                                ;   in Loop: Header=BB5_3 Depth=1
	s_or_b32 exec_lo, exec_lo, s0
	s_delay_alu instid0(VALU_DEP_1) | instskip(SKIP_1) | instid1(VALU_DEP_1)
	v_or_b32_e32 v3, s28, v9
                                        ; implicit-def: $vgpr10_vgpr11
	s_mov_b32 s0, exec_lo
	v_cmpx_ne_u64_e32 0, v[2:3]
	s_xor_b32 s1, exec_lo, s0
	s_cbranch_execz .LBB5_9
; %bb.8:                                ;   in Loop: Header=BB5_3 Depth=1
	s_add_u32 s4, s29, s28
	s_mov_b32 s2, s28
	s_mov_b32 s3, s28
	s_addc_u32 s5, s28, s28
	s_delay_alu instid0(SALU_CYCLE_1) | instskip(NEXT) | instid1(SALU_CYCLE_1)
	s_xor_b64 s[4:5], s[4:5], s[2:3]
	v_cvt_f32_u32_e32 v3, s4
	v_cvt_f32_u32_e32 v10, s5
	s_sub_u32 s0, 0, s4
	s_subb_u32 s50, 0, s5
	s_delay_alu instid0(VALU_DEP_1) | instskip(NEXT) | instid1(VALU_DEP_1)
	v_fmac_f32_e32 v3, 0x4f800000, v10
	v_rcp_f32_e32 v3, v3
	s_waitcnt_depctr 0xfff
	v_mul_f32_e32 v3, 0x5f7ffffc, v3
	s_delay_alu instid0(VALU_DEP_1) | instskip(NEXT) | instid1(VALU_DEP_1)
	v_mul_f32_e32 v10, 0x2f800000, v3
	v_trunc_f32_e32 v10, v10
	s_delay_alu instid0(VALU_DEP_1) | instskip(SKIP_1) | instid1(VALU_DEP_2)
	v_fmac_f32_e32 v3, 0xcf800000, v10
	v_cvt_u32_f32_e32 v10, v10
	v_cvt_u32_f32_e32 v3, v3
	s_delay_alu instid0(VALU_DEP_2) | instskip(NEXT) | instid1(VALU_DEP_2)
	v_mul_lo_u32 v11, s0, v10
	v_mul_hi_u32 v12, s0, v3
	v_mul_lo_u32 v13, s50, v3
	s_delay_alu instid0(VALU_DEP_2) | instskip(SKIP_1) | instid1(VALU_DEP_2)
	v_add_nc_u32_e32 v11, v12, v11
	v_mul_lo_u32 v12, s0, v3
	v_add_nc_u32_e32 v11, v11, v13
	s_delay_alu instid0(VALU_DEP_2) | instskip(NEXT) | instid1(VALU_DEP_2)
	v_mul_hi_u32 v13, v3, v12
	v_mul_lo_u32 v15, v3, v11
	v_mul_hi_u32 v16, v3, v11
	v_mul_hi_u32 v17, v10, v12
	v_mul_lo_u32 v12, v10, v12
	v_mul_hi_u32 v18, v10, v11
	v_mul_lo_u32 v11, v10, v11
	v_add_co_u32 v13, vcc_lo, v13, v15
	v_add_co_ci_u32_e32 v15, vcc_lo, 0, v16, vcc_lo
	s_delay_alu instid0(VALU_DEP_2) | instskip(NEXT) | instid1(VALU_DEP_2)
	v_add_co_u32 v12, vcc_lo, v13, v12
	v_add_co_ci_u32_e32 v12, vcc_lo, v15, v17, vcc_lo
	v_add_co_ci_u32_e32 v13, vcc_lo, 0, v18, vcc_lo
	v_ashrrev_i32_e32 v17, 31, v9
	s_delay_alu instid0(VALU_DEP_3) | instskip(NEXT) | instid1(VALU_DEP_3)
	v_add_co_u32 v11, vcc_lo, v12, v11
	v_add_co_ci_u32_e32 v12, vcc_lo, 0, v13, vcc_lo
	s_delay_alu instid0(VALU_DEP_2) | instskip(NEXT) | instid1(VALU_DEP_2)
	v_add_co_u32 v3, vcc_lo, v3, v11
	v_add_co_ci_u32_e32 v10, vcc_lo, v10, v12, vcc_lo
	s_delay_alu instid0(VALU_DEP_2) | instskip(SKIP_1) | instid1(VALU_DEP_3)
	v_mul_hi_u32 v11, s0, v3
	v_mul_lo_u32 v13, s50, v3
	v_mul_lo_u32 v12, s0, v10
	s_delay_alu instid0(VALU_DEP_1) | instskip(SKIP_1) | instid1(VALU_DEP_2)
	v_add_nc_u32_e32 v11, v11, v12
	v_mul_lo_u32 v12, s0, v3
	v_add_nc_u32_e32 v11, v11, v13
	s_delay_alu instid0(VALU_DEP_2) | instskip(NEXT) | instid1(VALU_DEP_2)
	v_mul_hi_u32 v13, v3, v12
	v_mul_lo_u32 v15, v3, v11
	v_mul_hi_u32 v16, v3, v11
	v_mul_hi_u32 v18, v10, v12
	v_mul_lo_u32 v12, v10, v12
	v_mul_hi_u32 v19, v10, v11
	v_mul_lo_u32 v11, v10, v11
	v_add_co_u32 v13, vcc_lo, v13, v15
	v_add_co_ci_u32_e32 v15, vcc_lo, 0, v16, vcc_lo
	s_delay_alu instid0(VALU_DEP_2) | instskip(NEXT) | instid1(VALU_DEP_2)
	v_add_co_u32 v12, vcc_lo, v13, v12
	v_add_co_ci_u32_e32 v12, vcc_lo, v15, v18, vcc_lo
	v_add_co_ci_u32_e32 v13, vcc_lo, 0, v19, vcc_lo
	v_add_co_u32 v15, vcc_lo, v8, v17
	v_add_co_ci_u32_e32 v16, vcc_lo, v9, v17, vcc_lo
	s_delay_alu instid0(VALU_DEP_4) | instskip(NEXT) | instid1(VALU_DEP_4)
	v_add_co_u32 v11, vcc_lo, v12, v11
	v_add_co_ci_u32_e32 v12, vcc_lo, 0, v13, vcc_lo
	s_delay_alu instid0(VALU_DEP_4) | instskip(NEXT) | instid1(VALU_DEP_3)
	v_xor_b32_e32 v18, v15, v17
	v_add_co_u32 v3, vcc_lo, v3, v11
	s_delay_alu instid0(VALU_DEP_3) | instskip(SKIP_1) | instid1(VALU_DEP_3)
	v_add_co_ci_u32_e32 v19, vcc_lo, v10, v12, vcc_lo
	v_xor_b32_e32 v20, v16, v17
	v_mul_hi_u32 v21, v18, v3
	s_delay_alu instid0(VALU_DEP_3) | instskip(NEXT) | instid1(VALU_DEP_3)
	v_mad_u64_u32 v[10:11], null, v18, v19, 0
	v_mad_u64_u32 v[12:13], null, v20, v3, 0
	;; [unrolled: 1-line block ×3, first 2 shown]
	s_delay_alu instid0(VALU_DEP_3) | instskip(NEXT) | instid1(VALU_DEP_4)
	v_add_co_u32 v3, vcc_lo, v21, v10
	v_add_co_ci_u32_e32 v10, vcc_lo, 0, v11, vcc_lo
	s_delay_alu instid0(VALU_DEP_2) | instskip(NEXT) | instid1(VALU_DEP_2)
	v_add_co_u32 v3, vcc_lo, v3, v12
	v_add_co_ci_u32_e32 v3, vcc_lo, v10, v13, vcc_lo
	v_add_co_ci_u32_e32 v10, vcc_lo, 0, v16, vcc_lo
	s_delay_alu instid0(VALU_DEP_2) | instskip(NEXT) | instid1(VALU_DEP_2)
	v_add_co_u32 v3, vcc_lo, v3, v15
	v_add_co_ci_u32_e32 v12, vcc_lo, 0, v10, vcc_lo
	s_delay_alu instid0(VALU_DEP_2) | instskip(SKIP_1) | instid1(VALU_DEP_3)
	v_mul_lo_u32 v13, s5, v3
	v_mad_u64_u32 v[10:11], null, s4, v3, 0
	v_mul_lo_u32 v15, s4, v12
	s_delay_alu instid0(VALU_DEP_2) | instskip(NEXT) | instid1(VALU_DEP_2)
	v_sub_co_u32 v10, vcc_lo, v18, v10
	v_add3_u32 v11, v11, v15, v13
	s_delay_alu instid0(VALU_DEP_1) | instskip(NEXT) | instid1(VALU_DEP_1)
	v_sub_nc_u32_e32 v13, v20, v11
	v_subrev_co_ci_u32_e64 v13, s0, s5, v13, vcc_lo
	v_add_co_u32 v15, s0, v3, 2
	s_delay_alu instid0(VALU_DEP_1) | instskip(SKIP_3) | instid1(VALU_DEP_3)
	v_add_co_ci_u32_e64 v16, s0, 0, v12, s0
	v_sub_co_u32 v18, s0, v10, s4
	v_sub_co_ci_u32_e32 v11, vcc_lo, v20, v11, vcc_lo
	v_subrev_co_ci_u32_e64 v13, s0, 0, v13, s0
	v_cmp_le_u32_e32 vcc_lo, s4, v18
	s_delay_alu instid0(VALU_DEP_3) | instskip(SKIP_1) | instid1(VALU_DEP_4)
	v_cmp_eq_u32_e64 s0, s5, v11
	v_cndmask_b32_e64 v18, 0, -1, vcc_lo
	v_cmp_le_u32_e32 vcc_lo, s5, v13
	v_cndmask_b32_e64 v19, 0, -1, vcc_lo
	v_cmp_le_u32_e32 vcc_lo, s4, v10
	;; [unrolled: 2-line block ×3, first 2 shown]
	v_cndmask_b32_e64 v20, 0, -1, vcc_lo
	v_cmp_eq_u32_e32 vcc_lo, s5, v13
	s_delay_alu instid0(VALU_DEP_2) | instskip(SKIP_3) | instid1(VALU_DEP_3)
	v_cndmask_b32_e64 v10, v20, v10, s0
	v_cndmask_b32_e32 v13, v19, v18, vcc_lo
	v_add_co_u32 v18, vcc_lo, v3, 1
	v_add_co_ci_u32_e32 v19, vcc_lo, 0, v12, vcc_lo
	v_cmp_ne_u32_e32 vcc_lo, 0, v13
	s_delay_alu instid0(VALU_DEP_2) | instskip(NEXT) | instid1(VALU_DEP_4)
	v_cndmask_b32_e32 v11, v19, v16, vcc_lo
	v_cndmask_b32_e32 v13, v18, v15, vcc_lo
	v_cmp_ne_u32_e32 vcc_lo, 0, v10
	v_xor_b32_e32 v10, s2, v17
	s_delay_alu instid0(VALU_DEP_3) | instskip(SKIP_2) | instid1(VALU_DEP_3)
	v_cndmask_b32_e32 v3, v3, v13, vcc_lo
	v_cndmask_b32_e32 v11, v12, v11, vcc_lo
	v_xor_b32_e32 v12, s3, v17
	v_xor_b32_e32 v3, v3, v10
	s_delay_alu instid0(VALU_DEP_2) | instskip(NEXT) | instid1(VALU_DEP_2)
	v_xor_b32_e32 v11, v11, v12
	v_sub_co_u32 v10, vcc_lo, v3, v10
	s_delay_alu instid0(VALU_DEP_2)
	v_sub_co_ci_u32_e32 v11, vcc_lo, v11, v12, vcc_lo
.LBB5_9:                                ;   in Loop: Header=BB5_3 Depth=1
	s_and_not1_saveexec_b32 s0, s1
	s_cbranch_execz .LBB5_11
; %bb.10:                               ;   in Loop: Header=BB5_3 Depth=1
	v_cvt_f32_u32_e32 v3, s29
	s_sub_i32 s1, 0, s29
	s_delay_alu instid0(VALU_DEP_1) | instskip(SKIP_2) | instid1(VALU_DEP_1)
	v_rcp_iflag_f32_e32 v3, v3
	s_waitcnt_depctr 0xfff
	v_mul_f32_e32 v3, 0x4f7ffffe, v3
	v_cvt_u32_f32_e32 v3, v3
	s_delay_alu instid0(VALU_DEP_1) | instskip(NEXT) | instid1(VALU_DEP_1)
	v_mul_lo_u32 v10, s1, v3
	v_mul_hi_u32 v10, v3, v10
	s_delay_alu instid0(VALU_DEP_1) | instskip(NEXT) | instid1(VALU_DEP_1)
	v_add_nc_u32_e32 v3, v3, v10
	v_mul_hi_u32 v3, v8, v3
	s_delay_alu instid0(VALU_DEP_1) | instskip(SKIP_1) | instid1(VALU_DEP_2)
	v_mul_lo_u32 v10, v3, s29
	v_add_nc_u32_e32 v11, 1, v3
	v_sub_nc_u32_e32 v10, v8, v10
	s_delay_alu instid0(VALU_DEP_1) | instskip(SKIP_1) | instid1(VALU_DEP_2)
	v_subrev_nc_u32_e32 v12, s29, v10
	v_cmp_le_u32_e32 vcc_lo, s29, v10
	v_dual_cndmask_b32 v10, v10, v12 :: v_dual_cndmask_b32 v3, v3, v11
	s_delay_alu instid0(VALU_DEP_1) | instskip(NEXT) | instid1(VALU_DEP_2)
	v_cmp_le_u32_e32 vcc_lo, s29, v10
	v_add_nc_u32_e32 v11, 1, v3
	s_delay_alu instid0(VALU_DEP_1)
	v_dual_cndmask_b32 v10, v3, v11 :: v_dual_mov_b32 v11, v2
.LBB5_11:                               ;   in Loop: Header=BB5_3 Depth=1
	s_or_b32 exec_lo, exec_lo, s0
	s_delay_alu instid0(VALU_DEP_1) | instskip(SKIP_1) | instid1(VALU_DEP_1)
	v_or_b32_e32 v3, s30, v11
                                        ; implicit-def: $vgpr12_vgpr13
	s_mov_b32 s0, exec_lo
	v_cmpx_ne_u64_e32 0, v[2:3]
	s_xor_b32 s1, exec_lo, s0
	s_cbranch_execz .LBB5_13
; %bb.12:                               ;   in Loop: Header=BB5_3 Depth=1
	s_add_u32 s4, s19, s30
	s_mov_b32 s2, s30
	s_mov_b32 s3, s30
	s_addc_u32 s5, s30, s30
	s_delay_alu instid0(SALU_CYCLE_1) | instskip(NEXT) | instid1(SALU_CYCLE_1)
	s_xor_b64 s[4:5], s[4:5], s[2:3]
	v_cvt_f32_u32_e32 v3, s4
	v_cvt_f32_u32_e32 v12, s5
	s_sub_u32 s0, 0, s4
	s_subb_u32 s50, 0, s5
	s_delay_alu instid0(VALU_DEP_1) | instskip(NEXT) | instid1(VALU_DEP_1)
	v_fmac_f32_e32 v3, 0x4f800000, v12
	v_rcp_f32_e32 v3, v3
	s_waitcnt_depctr 0xfff
	v_mul_f32_e32 v3, 0x5f7ffffc, v3
	s_delay_alu instid0(VALU_DEP_1) | instskip(NEXT) | instid1(VALU_DEP_1)
	v_mul_f32_e32 v12, 0x2f800000, v3
	v_trunc_f32_e32 v12, v12
	s_delay_alu instid0(VALU_DEP_1) | instskip(SKIP_1) | instid1(VALU_DEP_2)
	v_fmac_f32_e32 v3, 0xcf800000, v12
	v_cvt_u32_f32_e32 v12, v12
	v_cvt_u32_f32_e32 v3, v3
	s_delay_alu instid0(VALU_DEP_2) | instskip(NEXT) | instid1(VALU_DEP_2)
	v_mul_lo_u32 v13, s0, v12
	v_mul_hi_u32 v15, s0, v3
	v_mul_lo_u32 v16, s50, v3
	s_delay_alu instid0(VALU_DEP_2) | instskip(SKIP_1) | instid1(VALU_DEP_2)
	v_add_nc_u32_e32 v13, v15, v13
	v_mul_lo_u32 v15, s0, v3
	v_add_nc_u32_e32 v13, v13, v16
	s_delay_alu instid0(VALU_DEP_2) | instskip(NEXT) | instid1(VALU_DEP_2)
	v_mul_hi_u32 v16, v3, v15
	v_mul_lo_u32 v17, v3, v13
	v_mul_hi_u32 v18, v3, v13
	v_mul_hi_u32 v19, v12, v15
	v_mul_lo_u32 v15, v12, v15
	v_mul_hi_u32 v20, v12, v13
	v_mul_lo_u32 v13, v12, v13
	v_add_co_u32 v16, vcc_lo, v16, v17
	v_add_co_ci_u32_e32 v17, vcc_lo, 0, v18, vcc_lo
	s_delay_alu instid0(VALU_DEP_2) | instskip(NEXT) | instid1(VALU_DEP_2)
	v_add_co_u32 v15, vcc_lo, v16, v15
	v_add_co_ci_u32_e32 v15, vcc_lo, v17, v19, vcc_lo
	v_add_co_ci_u32_e32 v16, vcc_lo, 0, v20, vcc_lo
	v_ashrrev_i32_e32 v19, 31, v11
	s_delay_alu instid0(VALU_DEP_3) | instskip(NEXT) | instid1(VALU_DEP_3)
	v_add_co_u32 v13, vcc_lo, v15, v13
	v_add_co_ci_u32_e32 v15, vcc_lo, 0, v16, vcc_lo
	s_delay_alu instid0(VALU_DEP_2) | instskip(NEXT) | instid1(VALU_DEP_2)
	v_add_co_u32 v3, vcc_lo, v3, v13
	v_add_co_ci_u32_e32 v12, vcc_lo, v12, v15, vcc_lo
	s_delay_alu instid0(VALU_DEP_2) | instskip(SKIP_1) | instid1(VALU_DEP_3)
	v_mul_hi_u32 v13, s0, v3
	v_mul_lo_u32 v16, s50, v3
	v_mul_lo_u32 v15, s0, v12
	s_delay_alu instid0(VALU_DEP_1) | instskip(SKIP_1) | instid1(VALU_DEP_2)
	v_add_nc_u32_e32 v13, v13, v15
	v_mul_lo_u32 v15, s0, v3
	v_add_nc_u32_e32 v13, v13, v16
	s_delay_alu instid0(VALU_DEP_2) | instskip(NEXT) | instid1(VALU_DEP_2)
	v_mul_hi_u32 v16, v3, v15
	v_mul_lo_u32 v17, v3, v13
	v_mul_hi_u32 v18, v3, v13
	v_mul_hi_u32 v20, v12, v15
	v_mul_lo_u32 v15, v12, v15
	v_mul_hi_u32 v21, v12, v13
	v_mul_lo_u32 v13, v12, v13
	v_add_co_u32 v16, vcc_lo, v16, v17
	v_add_co_ci_u32_e32 v17, vcc_lo, 0, v18, vcc_lo
	s_delay_alu instid0(VALU_DEP_2) | instskip(NEXT) | instid1(VALU_DEP_2)
	v_add_co_u32 v15, vcc_lo, v16, v15
	v_add_co_ci_u32_e32 v15, vcc_lo, v17, v20, vcc_lo
	v_add_co_ci_u32_e32 v16, vcc_lo, 0, v21, vcc_lo
	v_add_co_u32 v17, vcc_lo, v10, v19
	v_add_co_ci_u32_e32 v18, vcc_lo, v11, v19, vcc_lo
	s_delay_alu instid0(VALU_DEP_4) | instskip(NEXT) | instid1(VALU_DEP_4)
	v_add_co_u32 v13, vcc_lo, v15, v13
	v_add_co_ci_u32_e32 v15, vcc_lo, 0, v16, vcc_lo
	s_delay_alu instid0(VALU_DEP_4) | instskip(NEXT) | instid1(VALU_DEP_3)
	v_xor_b32_e32 v20, v17, v19
	v_add_co_u32 v3, vcc_lo, v3, v13
	s_delay_alu instid0(VALU_DEP_3) | instskip(SKIP_1) | instid1(VALU_DEP_3)
	v_add_co_ci_u32_e32 v21, vcc_lo, v12, v15, vcc_lo
	v_xor_b32_e32 v22, v18, v19
	v_mul_hi_u32 v23, v20, v3
	s_delay_alu instid0(VALU_DEP_3) | instskip(NEXT) | instid1(VALU_DEP_3)
	v_mad_u64_u32 v[12:13], null, v20, v21, 0
	v_mad_u64_u32 v[15:16], null, v22, v3, 0
	;; [unrolled: 1-line block ×3, first 2 shown]
	s_delay_alu instid0(VALU_DEP_3) | instskip(NEXT) | instid1(VALU_DEP_4)
	v_add_co_u32 v3, vcc_lo, v23, v12
	v_add_co_ci_u32_e32 v12, vcc_lo, 0, v13, vcc_lo
	s_delay_alu instid0(VALU_DEP_2) | instskip(NEXT) | instid1(VALU_DEP_2)
	v_add_co_u32 v3, vcc_lo, v3, v15
	v_add_co_ci_u32_e32 v3, vcc_lo, v12, v16, vcc_lo
	v_add_co_ci_u32_e32 v12, vcc_lo, 0, v18, vcc_lo
	s_delay_alu instid0(VALU_DEP_2) | instskip(NEXT) | instid1(VALU_DEP_2)
	v_add_co_u32 v3, vcc_lo, v3, v17
	v_add_co_ci_u32_e32 v15, vcc_lo, 0, v12, vcc_lo
	s_delay_alu instid0(VALU_DEP_2) | instskip(SKIP_1) | instid1(VALU_DEP_3)
	v_mul_lo_u32 v16, s5, v3
	v_mad_u64_u32 v[12:13], null, s4, v3, 0
	v_mul_lo_u32 v17, s4, v15
	s_delay_alu instid0(VALU_DEP_2) | instskip(NEXT) | instid1(VALU_DEP_2)
	v_sub_co_u32 v12, vcc_lo, v20, v12
	v_add3_u32 v13, v13, v17, v16
	s_delay_alu instid0(VALU_DEP_1) | instskip(NEXT) | instid1(VALU_DEP_1)
	v_sub_nc_u32_e32 v16, v22, v13
	v_subrev_co_ci_u32_e64 v16, s0, s5, v16, vcc_lo
	v_add_co_u32 v17, s0, v3, 2
	s_delay_alu instid0(VALU_DEP_1) | instskip(SKIP_3) | instid1(VALU_DEP_3)
	v_add_co_ci_u32_e64 v18, s0, 0, v15, s0
	v_sub_co_u32 v20, s0, v12, s4
	v_sub_co_ci_u32_e32 v13, vcc_lo, v22, v13, vcc_lo
	v_subrev_co_ci_u32_e64 v16, s0, 0, v16, s0
	v_cmp_le_u32_e32 vcc_lo, s4, v20
	s_delay_alu instid0(VALU_DEP_3) | instskip(SKIP_1) | instid1(VALU_DEP_4)
	v_cmp_eq_u32_e64 s0, s5, v13
	v_cndmask_b32_e64 v20, 0, -1, vcc_lo
	v_cmp_le_u32_e32 vcc_lo, s5, v16
	v_cndmask_b32_e64 v21, 0, -1, vcc_lo
	v_cmp_le_u32_e32 vcc_lo, s4, v12
	;; [unrolled: 2-line block ×3, first 2 shown]
	v_cndmask_b32_e64 v22, 0, -1, vcc_lo
	v_cmp_eq_u32_e32 vcc_lo, s5, v16
	s_delay_alu instid0(VALU_DEP_2) | instskip(SKIP_3) | instid1(VALU_DEP_3)
	v_cndmask_b32_e64 v12, v22, v12, s0
	v_cndmask_b32_e32 v16, v21, v20, vcc_lo
	v_add_co_u32 v20, vcc_lo, v3, 1
	v_add_co_ci_u32_e32 v21, vcc_lo, 0, v15, vcc_lo
	v_cmp_ne_u32_e32 vcc_lo, 0, v16
	s_delay_alu instid0(VALU_DEP_2) | instskip(SKIP_2) | instid1(VALU_DEP_3)
	v_dual_cndmask_b32 v13, v21, v18 :: v_dual_cndmask_b32 v16, v20, v17
	v_cmp_ne_u32_e32 vcc_lo, 0, v12
	v_xor_b32_e32 v12, s2, v19
	v_cndmask_b32_e32 v3, v3, v16, vcc_lo
	s_delay_alu instid0(VALU_DEP_4) | instskip(SKIP_1) | instid1(VALU_DEP_3)
	v_cndmask_b32_e32 v13, v15, v13, vcc_lo
	v_xor_b32_e32 v15, s3, v19
	v_xor_b32_e32 v3, v3, v12
	s_delay_alu instid0(VALU_DEP_2) | instskip(NEXT) | instid1(VALU_DEP_2)
	v_xor_b32_e32 v13, v13, v15
	v_sub_co_u32 v12, vcc_lo, v3, v12
	s_delay_alu instid0(VALU_DEP_2)
	v_sub_co_ci_u32_e32 v13, vcc_lo, v13, v15, vcc_lo
.LBB5_13:                               ;   in Loop: Header=BB5_3 Depth=1
	s_and_not1_saveexec_b32 s0, s1
	s_cbranch_execz .LBB5_15
; %bb.14:                               ;   in Loop: Header=BB5_3 Depth=1
	v_cvt_f32_u32_e32 v3, s19
	s_sub_i32 s1, 0, s19
	s_delay_alu instid0(VALU_DEP_1) | instskip(SKIP_2) | instid1(VALU_DEP_1)
	v_rcp_iflag_f32_e32 v3, v3
	s_waitcnt_depctr 0xfff
	v_mul_f32_e32 v3, 0x4f7ffffe, v3
	v_cvt_u32_f32_e32 v3, v3
	s_delay_alu instid0(VALU_DEP_1) | instskip(NEXT) | instid1(VALU_DEP_1)
	v_mul_lo_u32 v12, s1, v3
	v_mul_hi_u32 v12, v3, v12
	s_delay_alu instid0(VALU_DEP_1) | instskip(NEXT) | instid1(VALU_DEP_1)
	v_add_nc_u32_e32 v3, v3, v12
	v_mul_hi_u32 v3, v10, v3
	s_delay_alu instid0(VALU_DEP_1) | instskip(SKIP_1) | instid1(VALU_DEP_2)
	v_mul_lo_u32 v12, v3, s19
	v_add_nc_u32_e32 v13, 1, v3
	v_sub_nc_u32_e32 v12, v10, v12
	s_delay_alu instid0(VALU_DEP_1) | instskip(SKIP_1) | instid1(VALU_DEP_2)
	v_subrev_nc_u32_e32 v15, s19, v12
	v_cmp_le_u32_e32 vcc_lo, s19, v12
	v_dual_cndmask_b32 v12, v12, v15 :: v_dual_cndmask_b32 v3, v3, v13
	s_delay_alu instid0(VALU_DEP_1) | instskip(NEXT) | instid1(VALU_DEP_2)
	v_cmp_le_u32_e32 vcc_lo, s19, v12
	v_add_nc_u32_e32 v13, 1, v3
	s_delay_alu instid0(VALU_DEP_1)
	v_dual_cndmask_b32 v12, v3, v13 :: v_dual_mov_b32 v13, v2
.LBB5_15:                               ;   in Loop: Header=BB5_3 Depth=1
	s_or_b32 exec_lo, exec_lo, s0
	v_mul_lo_u32 v3, v11, s29
	v_mul_lo_u32 v19, v10, s28
	v_mad_u64_u32 v[15:16], null, v10, s29, 0
	v_mul_lo_u32 v20, v13, s19
	v_mul_lo_u32 v21, v12, s30
	v_mad_u64_u32 v[17:18], null, v12, s19, 0
	v_mul_lo_u32 v23, v8, s26
	v_add3_u32 v3, v16, v19, v3
	v_sub_co_u32 v15, vcc_lo, v8, v15
	s_delay_alu instid0(VALU_DEP_4) | instskip(NEXT) | instid1(VALU_DEP_3)
	v_add3_u32 v22, v18, v21, v20
	v_sub_co_ci_u32_e32 v16, vcc_lo, v9, v3, vcc_lo
	v_sub_co_u32 v10, vcc_lo, v10, v17
	s_delay_alu instid0(VALU_DEP_3) | instskip(SKIP_2) | instid1(VALU_DEP_3)
	v_sub_co_ci_u32_e32 v11, vcc_lo, v11, v22, vcc_lo
	v_mul_lo_u32 v3, v9, s27
	v_mad_u64_u32 v[18:19], null, v8, s27, 0
	v_mul_lo_u32 v24, v11, s13
	v_mul_lo_u32 v25, v10, s31
	v_mad_u64_u32 v[8:9], null, v10, s13, 0
	v_mul_lo_u32 v26, v16, s36
	v_mul_lo_u32 v27, v15, s35
	v_mad_u64_u32 v[20:21], null, v15, s36, 0
	v_add3_u32 v3, v19, v23, v3
	v_sub_co_u32 v18, vcc_lo, v4, v18
	s_delay_alu instid0(VALU_DEP_2)
	v_sub_co_ci_u32_e32 v19, vcc_lo, v5, v3, vcc_lo
	v_add3_u32 v3, v9, v25, v24
	v_add3_u32 v23, v21, v27, v26
	v_mul_lo_u32 v24, v22, s43
	v_mad_u64_u32 v[21:22], null, v17, s43, v[10:11]
	v_mul_lo_u32 v17, v17, s42
	v_sub_co_u32 v8, vcc_lo, v8, s34
	v_subrev_co_ci_u32_e32 v9, vcc_lo, s33, v3, vcc_lo
	v_sub_co_u32 v10, vcc_lo, v20, s38
	v_subrev_co_ci_u32_e32 v11, vcc_lo, s37, v23, vcc_lo
	v_add3_u32 v17, v24, v22, v17
	s_delay_alu instid0(VALU_DEP_4)
	v_mad_u64_u32 v[22:23], null, v12, s10, v[8:9]
	v_mul_lo_u32 v20, v12, s11
	v_mul_lo_u32 v26, v13, s10
	;; [unrolled: 1-line block ×4, first 2 shown]
	v_mad_u64_u32 v[12:13], null, v18, s40, 0
	v_mul_lo_u32 v17, v17, s29
	v_mad_u64_u32 v[24:25], null, v21, s29, v[15:16]
	v_add3_u32 v20, v26, v23, v20
	v_mul_lo_u32 v21, v21, s28
	v_mad_u64_u32 v[15:16], null, v22, s14, v[10:11]
	v_mul_lo_u32 v22, v22, s15
	s_delay_alu instid0(VALU_DEP_4) | instskip(SKIP_4) | instid1(VALU_DEP_4)
	v_mul_lo_u32 v20, v20, s14
	v_add3_u32 v3, v13, v27, v3
	v_sub_co_u32 v12, vcc_lo, v12, s12
	v_add3_u32 v17, v17, v25, v21
	v_mul_lo_u32 v21, v24, s26
	v_subrev_co_ci_u32_e32 v13, vcc_lo, s41, v3, vcc_lo
	v_add3_u32 v20, v20, v16, v22
	s_delay_alu instid0(VALU_DEP_4) | instskip(SKIP_2) | instid1(VALU_DEP_4)
	v_mul_lo_u32 v3, v17, s27
	v_mad_u64_u32 v[16:17], null, v24, s27, v[18:19]
	v_mul_lo_u32 v22, v15, s25
	v_mul_lo_u32 v20, v20, s24
	v_mad_u64_u32 v[18:19], null, v15, s24, v[12:13]
	s_delay_alu instid0(VALU_DEP_4) | instskip(NEXT) | instid1(VALU_DEP_2)
	v_add3_u32 v17, v3, v17, v21
	v_add3_u32 v19, v20, v19, v22
	s_delay_alu instid0(VALU_DEP_2) | instskip(NEXT) | instid1(VALU_DEP_2)
	v_lshlrev_b64 v[15:16], 2, v[16:17]
	v_lshlrev_b64 v[17:18], 2, v[18:19]
	s_delay_alu instid0(VALU_DEP_2) | instskip(NEXT) | instid1(VALU_DEP_3)
	v_add_co_u32 v6, vcc_lo, v6, v15
	v_add_co_ci_u32_e32 v7, vcc_lo, v7, v16, vcc_lo
	s_delay_alu instid0(VALU_DEP_3) | instskip(NEXT) | instid1(VALU_DEP_4)
	v_add_co_u32 v0, vcc_lo, v0, v17
	v_add_co_ci_u32_e32 v1, vcc_lo, v1, v18, vcc_lo
	s_and_not1_b32 vcc_lo, exec_lo, s44
	s_cbranch_vccnz .LBB5_2
; %bb.16:                               ;   in Loop: Header=BB5_3 Depth=1
	s_mov_b32 s3, 0
	s_mov_b32 s4, 0
	s_branch .LBB5_18
.LBB5_17:                               ;   in Loop: Header=BB5_18 Depth=2
	s_add_i32 s4, s4, 1
	s_add_i32 s3, s3, s49
	s_cmp_eq_u32 s4, s7
	s_cbranch_scc1 .LBB5_2
.LBB5_18:                               ;   Parent Loop BB5_3 Depth=1
                                        ; =>  This Loop Header: Depth=2
                                        ;       Child Loop BB5_21 Depth 3
                                        ;         Child Loop BB5_24 Depth 4
	s_and_not1_b32 vcc_lo, exec_lo, s45
	s_cbranch_vccnz .LBB5_17
; %bb.19:                               ;   in Loop: Header=BB5_18 Depth=2
	s_mul_i32 s0, s4, s16
	s_mov_b32 s5, 0
	s_ashr_i32 s1, s0, 31
	v_add_co_u32 v15, vcc_lo, v8, s0
	v_add_co_ci_u32_e32 v16, vcc_lo, s1, v9, vcc_lo
	s_mov_b32 s50, s3
	s_delay_alu instid0(VALU_DEP_1)
	v_cmp_lt_i64_e64 s0, -1, v[15:16]
	v_cmp_gt_i64_e64 s1, s[10:11], v[15:16]
	s_branch .LBB5_21
.LBB5_20:                               ;   in Loop: Header=BB5_21 Depth=3
	s_set_inst_prefetch_distance 0x2
	s_add_i32 s5, s5, 1
	s_add_i32 s50, s50, s6
	s_cmp_eq_u32 s5, s8
	s_cbranch_scc1 .LBB5_17
.LBB5_21:                               ;   Parent Loop BB5_3 Depth=1
                                        ;     Parent Loop BB5_18 Depth=2
                                        ; =>    This Loop Header: Depth=3
                                        ;         Child Loop BB5_24 Depth 4
	s_and_not1_b32 vcc_lo, exec_lo, s47
	s_cbranch_vccnz .LBB5_20
; %bb.22:                               ;   in Loop: Header=BB5_21 Depth=3
	s_mul_i32 s2, s5, s17
	s_mov_b32 s53, s9
	s_ashr_i32 s51, s2, 31
	v_add_co_u32 v15, vcc_lo, v10, s2
	v_add_co_ci_u32_e32 v16, vcc_lo, s51, v11, vcc_lo
	s_mov_b32 s51, 0
	s_delay_alu instid0(VALU_DEP_1) | instskip(SKIP_1) | instid1(VALU_DEP_2)
	v_cmp_lt_i64_e64 s2, -1, v[15:16]
	v_cmp_gt_i64_e32 vcc_lo, s[14:15], v[15:16]
	s_and_b32 s52, s0, s2
	s_set_inst_prefetch_distance 0x1
	s_branch .LBB5_24
	.p2align	6
.LBB5_23:                               ;   in Loop: Header=BB5_24 Depth=4
	s_or_b32 exec_lo, exec_lo, s54
	s_waitcnt vmcnt(0)
	global_store_b32 v[6:7], v3, off
	v_add_co_u32 v6, s2, v6, s22
	s_delay_alu instid0(VALU_DEP_1)
	v_add_co_ci_u32_e64 v7, s2, s23, v7, s2
	s_add_i32 s53, s53, -1
	s_add_i32 s51, s51, s18
	s_cmp_eq_u32 s53, 0
	s_cbranch_scc1 .LBB5_20
.LBB5_24:                               ;   Parent Loop BB5_3 Depth=1
                                        ;     Parent Loop BB5_18 Depth=2
                                        ;       Parent Loop BB5_21 Depth=3
                                        ; =>      This Inner Loop Header: Depth=4
	s_ashr_i32 s54, s51, 31
	v_add_co_u32 v15, s2, v12, s51
	s_delay_alu instid0(VALU_DEP_1) | instskip(SKIP_1) | instid1(VALU_DEP_2)
	v_add_co_ci_u32_e64 v16, s2, s54, v13, s2
	v_mov_b32_e32 v3, 0
	v_cmp_lt_i64_e64 s2, -1, v[15:16]
	s_delay_alu instid0(VALU_DEP_1) | instskip(SKIP_2) | instid1(SALU_CYCLE_1)
	s_and_b32 s54, s52, s2
	v_cmp_gt_i64_e64 s2, s[24:25], v[15:16]
	s_and_b32 s54, s1, s54
	s_and_b32 s54, s54, vcc_lo
	s_delay_alu instid0(VALU_DEP_1) | instid1(SALU_CYCLE_1)
	s_and_b32 s2, s54, s2
	s_delay_alu instid0(SALU_CYCLE_1)
	s_and_saveexec_b32 s54, s2
	s_cbranch_execz .LBB5_23
; %bb.25:                               ;   in Loop: Header=BB5_24 Depth=4
	s_add_i32 s56, s50, s51
	s_delay_alu instid0(SALU_CYCLE_1) | instskip(NEXT) | instid1(SALU_CYCLE_1)
	s_ashr_i32 s57, s56, 31
	s_lshl_b64 s[56:57], s[56:57], 2
	s_delay_alu instid0(SALU_CYCLE_1) | instskip(NEXT) | instid1(VALU_DEP_1)
	v_add_co_u32 v15, s2, v0, s56
	v_add_co_ci_u32_e64 v16, s2, s57, v1, s2
	global_load_b32 v3, v[15:16], off
	s_branch .LBB5_23
.LBB5_26:
	s_nop 0
	s_sendmsg sendmsg(MSG_DEALLOC_VGPRS)
	s_endpgm
	.section	.rodata,"a",@progbits
	.p2align	6, 0x0
	.amdhsa_kernel _ZN2at6native14vol2col_kernelIfEEvlPKT_iiiiiiiiiiiiiiiiiiPS2_
		.amdhsa_group_segment_fixed_size 0
		.amdhsa_private_segment_fixed_size 0
		.amdhsa_kernarg_size 352
		.amdhsa_user_sgpr_count 15
		.amdhsa_user_sgpr_dispatch_ptr 0
		.amdhsa_user_sgpr_queue_ptr 0
		.amdhsa_user_sgpr_kernarg_segment_ptr 1
		.amdhsa_user_sgpr_dispatch_id 0
		.amdhsa_user_sgpr_private_segment_size 0
		.amdhsa_wavefront_size32 1
		.amdhsa_uses_dynamic_stack 0
		.amdhsa_enable_private_segment 0
		.amdhsa_system_sgpr_workgroup_id_x 1
		.amdhsa_system_sgpr_workgroup_id_y 0
		.amdhsa_system_sgpr_workgroup_id_z 0
		.amdhsa_system_sgpr_workgroup_info 0
		.amdhsa_system_vgpr_workitem_id 0
		.amdhsa_next_free_vgpr 28
		.amdhsa_next_free_sgpr 58
		.amdhsa_reserve_vcc 1
		.amdhsa_float_round_mode_32 0
		.amdhsa_float_round_mode_16_64 0
		.amdhsa_float_denorm_mode_32 3
		.amdhsa_float_denorm_mode_16_64 3
		.amdhsa_dx10_clamp 1
		.amdhsa_ieee_mode 1
		.amdhsa_fp16_overflow 0
		.amdhsa_workgroup_processor_mode 1
		.amdhsa_memory_ordered 1
		.amdhsa_forward_progress 0
		.amdhsa_shared_vgpr_count 0
		.amdhsa_exception_fp_ieee_invalid_op 0
		.amdhsa_exception_fp_denorm_src 0
		.amdhsa_exception_fp_ieee_div_zero 0
		.amdhsa_exception_fp_ieee_overflow 0
		.amdhsa_exception_fp_ieee_underflow 0
		.amdhsa_exception_fp_ieee_inexact 0
		.amdhsa_exception_int_div_zero 0
	.end_amdhsa_kernel
	.section	.text._ZN2at6native14vol2col_kernelIfEEvlPKT_iiiiiiiiiiiiiiiiiiPS2_,"axG",@progbits,_ZN2at6native14vol2col_kernelIfEEvlPKT_iiiiiiiiiiiiiiiiiiPS2_,comdat
.Lfunc_end5:
	.size	_ZN2at6native14vol2col_kernelIfEEvlPKT_iiiiiiiiiiiiiiiiiiPS2_, .Lfunc_end5-_ZN2at6native14vol2col_kernelIfEEvlPKT_iiiiiiiiiiiiiiiiiiPS2_
                                        ; -- End function
	.section	.AMDGPU.csdata,"",@progbits
; Kernel info:
; codeLenInByte = 4240
; NumSgprs: 60
; NumVgprs: 28
; ScratchSize: 0
; MemoryBound: 0
; FloatMode: 240
; IeeeMode: 1
; LDSByteSize: 0 bytes/workgroup (compile time only)
; SGPRBlocks: 7
; VGPRBlocks: 3
; NumSGPRsForWavesPerEU: 60
; NumVGPRsForWavesPerEU: 28
; Occupancy: 16
; WaveLimiterHint : 0
; COMPUTE_PGM_RSRC2:SCRATCH_EN: 0
; COMPUTE_PGM_RSRC2:USER_SGPR: 15
; COMPUTE_PGM_RSRC2:TRAP_HANDLER: 0
; COMPUTE_PGM_RSRC2:TGID_X_EN: 1
; COMPUTE_PGM_RSRC2:TGID_Y_EN: 0
; COMPUTE_PGM_RSRC2:TGID_Z_EN: 0
; COMPUTE_PGM_RSRC2:TIDIG_COMP_CNT: 0
	.section	.text._ZN2at6native14vol2col_kernelIN3c104HalfEEEvlPKT_iiiiiiiiiiiiiiiiiiPS4_,"axG",@progbits,_ZN2at6native14vol2col_kernelIN3c104HalfEEEvlPKT_iiiiiiiiiiiiiiiiiiPS4_,comdat
	.protected	_ZN2at6native14vol2col_kernelIN3c104HalfEEEvlPKT_iiiiiiiiiiiiiiiiiiPS4_ ; -- Begin function _ZN2at6native14vol2col_kernelIN3c104HalfEEEvlPKT_iiiiiiiiiiiiiiiiiiPS4_
	.globl	_ZN2at6native14vol2col_kernelIN3c104HalfEEEvlPKT_iiiiiiiiiiiiiiiiiiPS4_
	.p2align	8
	.type	_ZN2at6native14vol2col_kernelIN3c104HalfEEEvlPKT_iiiiiiiiiiiiiiiiiiPS4_,@function
_ZN2at6native14vol2col_kernelIN3c104HalfEEEvlPKT_iiiiiiiiiiiiiiiiiiPS4_: ; @_ZN2at6native14vol2col_kernelIN3c104HalfEEEvlPKT_iiiiiiiiiiiiiiiiiiPS4_
; %bb.0:
	s_clause 0x1
	s_load_b32 s2, s[0:1], 0x6c
	s_load_b128 s[20:23], s[0:1], 0x0
	v_mov_b32_e32 v2, 0
	s_add_u32 s24, s0, 0x60
	s_addc_u32 s25, s1, 0
	s_delay_alu instid0(VALU_DEP_1) | instskip(SKIP_3) | instid1(VALU_DEP_1)
	v_mov_b32_e32 v1, v2
	s_waitcnt lgkmcnt(0)
	s_and_b32 s48, s2, 0xffff
	s_mov_b32 s2, exec_lo
	v_mad_u64_u32 v[4:5], null, s48, s15, v[0:1]
	s_delay_alu instid0(VALU_DEP_1)
	v_cmpx_gt_i64_e64 s[20:21], v[4:5]
	s_cbranch_execz .LBB6_26
; %bb.1:
	s_clause 0x1
	s_load_b512 s[4:19], s[0:1], 0x10
	s_load_b128 s[0:3], s[0:1], 0x50
	s_load_b32 s49, s[24:25], 0x0
	s_mov_b32 s46, 0
	s_waitcnt lgkmcnt(0)
	s_ashr_i32 s33, s10, 31
	s_mov_b32 s27, s1
	s_mul_i32 s45, s0, s19
	v_cvt_f32_u32_e32 v0, s27
	s_ashr_i32 s28, s0, 31
	s_mov_b32 s29, s0
	s_ashr_i32 s0, s9, 31
	s_mov_b32 s34, s10
	v_rcp_iflag_f32_e32 v0, v0
	s_mul_i32 s10, s8, s7
	s_ashr_i32 s35, s14, 31
	s_mov_b32 s36, s14
	s_ashr_i32 s37, s11, 31
	s_mov_b32 s38, s11
	s_mul_i32 s0, s10, s0
	s_mul_hi_u32 s11, s10, s9
	s_mul_hi_i32 s14, s8, s7
	s_add_i32 s0, s11, s0
	s_mul_i32 s14, s14, s9
	s_ashr_i32 s26, s1, 31
	s_ashr_i32 s30, s19, 31
	;; [unrolled: 1-line block ×4, first 2 shown]
	s_mov_b32 s40, s15
	s_ashr_i32 s41, s12, 31
	s_add_i32 s42, s0, s14
	s_ashr_i32 s11, s4, 31
	s_ashr_i32 s15, s5, 31
	;; [unrolled: 1-line block ×3, first 2 shown]
	s_cmp_gt_i32 s7, 0
	s_waitcnt_depctr 0xfff
	v_dual_mul_f32 v3, 0x4f7ffffe, v0 :: v_dual_mov_b32 v0, s22
	s_cselect_b32 s44, -1, 0
	s_cmp_gt_i32 s8, 0
	s_mul_i32 s0, s45, s1
	s_cselect_b32 s45, -1, 0
	s_cmp_gt_i32 s9, 0
	v_mov_b32_e32 v7, s3
	v_dual_mov_b32 v1, s23 :: v_dual_mov_b32 v6, s2
	v_cvt_u32_f32_e32 v14, v3
	s_cselect_b32 s47, -1, 0
	s_ashr_i32 s1, s0, 31
	s_mul_i32 s48, s49, s48
	s_mul_i32 s49, s16, s6
	;; [unrolled: 1-line block ×3, first 2 shown]
	s_mov_b32 s10, s4
	s_mov_b32 s14, s5
	;; [unrolled: 1-line block ×3, first 2 shown]
	s_lshl_b64 s[22:23], s[0:1], 1
	s_mul_i32 s49, s49, s5
	s_mul_i32 s6, s17, s6
	s_branch .LBB6_3
.LBB6_2:                                ;   in Loop: Header=BB6_3 Depth=1
	v_add_co_u32 v4, vcc_lo, v4, s48
	v_add_co_ci_u32_e32 v5, vcc_lo, 0, v5, vcc_lo
	s_delay_alu instid0(VALU_DEP_1) | instskip(SKIP_1) | instid1(SALU_CYCLE_1)
	v_cmp_le_i64_e32 vcc_lo, s[20:21], v[4:5]
	s_or_b32 s46, vcc_lo, s46
	s_and_not1_b32 exec_lo, exec_lo, s46
	s_cbranch_execz .LBB6_26
.LBB6_3:                                ; =>This Loop Header: Depth=1
                                        ;     Child Loop BB6_18 Depth 2
                                        ;       Child Loop BB6_21 Depth 3
                                        ;         Child Loop BB6_24 Depth 4
	v_or_b32_e32 v3, s26, v5
                                        ; implicit-def: $vgpr8_vgpr9
	s_mov_b32 s0, exec_lo
	s_delay_alu instid0(VALU_DEP_1)
	v_cmpx_ne_u64_e32 0, v[2:3]
	s_xor_b32 s1, exec_lo, s0
	s_cbranch_execz .LBB6_5
; %bb.4:                                ;   in Loop: Header=BB6_3 Depth=1
	s_add_u32 s4, s27, s26
	s_mov_b32 s2, s26
	s_mov_b32 s3, s26
	s_addc_u32 s5, s26, s26
	s_delay_alu instid0(SALU_CYCLE_1) | instskip(NEXT) | instid1(SALU_CYCLE_1)
	s_xor_b64 s[4:5], s[4:5], s[2:3]
	v_cvt_f32_u32_e32 v3, s4
	v_cvt_f32_u32_e32 v8, s5
	s_sub_u32 s0, 0, s4
	s_subb_u32 s50, 0, s5
	s_delay_alu instid0(VALU_DEP_1) | instskip(NEXT) | instid1(VALU_DEP_1)
	v_fmac_f32_e32 v3, 0x4f800000, v8
	v_rcp_f32_e32 v3, v3
	s_waitcnt_depctr 0xfff
	v_mul_f32_e32 v3, 0x5f7ffffc, v3
	s_delay_alu instid0(VALU_DEP_1) | instskip(NEXT) | instid1(VALU_DEP_1)
	v_mul_f32_e32 v8, 0x2f800000, v3
	v_trunc_f32_e32 v8, v8
	s_delay_alu instid0(VALU_DEP_1) | instskip(SKIP_1) | instid1(VALU_DEP_2)
	v_fmac_f32_e32 v3, 0xcf800000, v8
	v_cvt_u32_f32_e32 v8, v8
	v_cvt_u32_f32_e32 v3, v3
	s_delay_alu instid0(VALU_DEP_2) | instskip(NEXT) | instid1(VALU_DEP_2)
	v_mul_lo_u32 v9, s0, v8
	v_mul_hi_u32 v10, s0, v3
	v_mul_lo_u32 v11, s50, v3
	s_delay_alu instid0(VALU_DEP_2) | instskip(SKIP_1) | instid1(VALU_DEP_2)
	v_add_nc_u32_e32 v9, v10, v9
	v_mul_lo_u32 v10, s0, v3
	v_add_nc_u32_e32 v9, v9, v11
	s_delay_alu instid0(VALU_DEP_2) | instskip(NEXT) | instid1(VALU_DEP_2)
	v_mul_hi_u32 v11, v3, v10
	v_mul_lo_u32 v12, v3, v9
	v_mul_hi_u32 v13, v3, v9
	v_mul_hi_u32 v15, v8, v10
	v_mul_lo_u32 v10, v8, v10
	v_mul_hi_u32 v16, v8, v9
	v_mul_lo_u32 v9, v8, v9
	v_add_co_u32 v11, vcc_lo, v11, v12
	v_add_co_ci_u32_e32 v12, vcc_lo, 0, v13, vcc_lo
	s_delay_alu instid0(VALU_DEP_2) | instskip(NEXT) | instid1(VALU_DEP_2)
	v_add_co_u32 v10, vcc_lo, v11, v10
	v_add_co_ci_u32_e32 v10, vcc_lo, v12, v15, vcc_lo
	v_add_co_ci_u32_e32 v11, vcc_lo, 0, v16, vcc_lo
	v_ashrrev_i32_e32 v15, 31, v5
	s_delay_alu instid0(VALU_DEP_3) | instskip(NEXT) | instid1(VALU_DEP_3)
	v_add_co_u32 v9, vcc_lo, v10, v9
	v_add_co_ci_u32_e32 v10, vcc_lo, 0, v11, vcc_lo
	s_delay_alu instid0(VALU_DEP_2) | instskip(NEXT) | instid1(VALU_DEP_2)
	v_add_co_u32 v3, vcc_lo, v3, v9
	v_add_co_ci_u32_e32 v8, vcc_lo, v8, v10, vcc_lo
	s_delay_alu instid0(VALU_DEP_2) | instskip(SKIP_1) | instid1(VALU_DEP_3)
	v_mul_hi_u32 v9, s0, v3
	v_mul_lo_u32 v11, s50, v3
	v_mul_lo_u32 v10, s0, v8
	s_delay_alu instid0(VALU_DEP_1) | instskip(SKIP_1) | instid1(VALU_DEP_2)
	v_add_nc_u32_e32 v9, v9, v10
	v_mul_lo_u32 v10, s0, v3
	v_add_nc_u32_e32 v9, v9, v11
	s_delay_alu instid0(VALU_DEP_2) | instskip(NEXT) | instid1(VALU_DEP_2)
	v_mul_hi_u32 v11, v3, v10
	v_mul_lo_u32 v12, v3, v9
	v_mul_hi_u32 v13, v3, v9
	v_mul_hi_u32 v16, v8, v10
	v_mul_lo_u32 v10, v8, v10
	v_mul_hi_u32 v17, v8, v9
	v_mul_lo_u32 v9, v8, v9
	v_add_co_u32 v11, vcc_lo, v11, v12
	v_add_co_ci_u32_e32 v12, vcc_lo, 0, v13, vcc_lo
	s_delay_alu instid0(VALU_DEP_2) | instskip(NEXT) | instid1(VALU_DEP_2)
	v_add_co_u32 v10, vcc_lo, v11, v10
	v_add_co_ci_u32_e32 v10, vcc_lo, v12, v16, vcc_lo
	v_add_co_ci_u32_e32 v11, vcc_lo, 0, v17, vcc_lo
	v_add_co_u32 v12, vcc_lo, v4, v15
	v_add_co_ci_u32_e32 v13, vcc_lo, v5, v15, vcc_lo
	s_delay_alu instid0(VALU_DEP_4) | instskip(NEXT) | instid1(VALU_DEP_4)
	v_add_co_u32 v9, vcc_lo, v10, v9
	v_add_co_ci_u32_e32 v10, vcc_lo, 0, v11, vcc_lo
	s_delay_alu instid0(VALU_DEP_4) | instskip(NEXT) | instid1(VALU_DEP_3)
	v_xor_b32_e32 v16, v12, v15
	v_add_co_u32 v3, vcc_lo, v3, v9
	s_delay_alu instid0(VALU_DEP_3) | instskip(SKIP_1) | instid1(VALU_DEP_3)
	v_add_co_ci_u32_e32 v17, vcc_lo, v8, v10, vcc_lo
	v_xor_b32_e32 v18, v13, v15
	v_mul_hi_u32 v19, v16, v3
	s_delay_alu instid0(VALU_DEP_3) | instskip(NEXT) | instid1(VALU_DEP_3)
	v_mad_u64_u32 v[8:9], null, v16, v17, 0
	v_mad_u64_u32 v[10:11], null, v18, v3, 0
	;; [unrolled: 1-line block ×3, first 2 shown]
	s_delay_alu instid0(VALU_DEP_3) | instskip(NEXT) | instid1(VALU_DEP_4)
	v_add_co_u32 v3, vcc_lo, v19, v8
	v_add_co_ci_u32_e32 v8, vcc_lo, 0, v9, vcc_lo
	s_delay_alu instid0(VALU_DEP_2) | instskip(NEXT) | instid1(VALU_DEP_2)
	v_add_co_u32 v3, vcc_lo, v3, v10
	v_add_co_ci_u32_e32 v3, vcc_lo, v8, v11, vcc_lo
	v_add_co_ci_u32_e32 v8, vcc_lo, 0, v13, vcc_lo
	s_delay_alu instid0(VALU_DEP_2) | instskip(NEXT) | instid1(VALU_DEP_2)
	v_add_co_u32 v3, vcc_lo, v3, v12
	v_add_co_ci_u32_e32 v10, vcc_lo, 0, v8, vcc_lo
	s_delay_alu instid0(VALU_DEP_2) | instskip(SKIP_1) | instid1(VALU_DEP_3)
	v_mul_lo_u32 v11, s5, v3
	v_mad_u64_u32 v[8:9], null, s4, v3, 0
	v_mul_lo_u32 v12, s4, v10
	s_delay_alu instid0(VALU_DEP_2) | instskip(NEXT) | instid1(VALU_DEP_2)
	v_sub_co_u32 v8, vcc_lo, v16, v8
	v_add3_u32 v9, v9, v12, v11
	s_delay_alu instid0(VALU_DEP_1) | instskip(NEXT) | instid1(VALU_DEP_1)
	v_sub_nc_u32_e32 v11, v18, v9
	v_subrev_co_ci_u32_e64 v11, s0, s5, v11, vcc_lo
	v_add_co_u32 v12, s0, v3, 2
	s_delay_alu instid0(VALU_DEP_1) | instskip(SKIP_3) | instid1(VALU_DEP_3)
	v_add_co_ci_u32_e64 v13, s0, 0, v10, s0
	v_sub_co_u32 v16, s0, v8, s4
	v_sub_co_ci_u32_e32 v9, vcc_lo, v18, v9, vcc_lo
	v_subrev_co_ci_u32_e64 v11, s0, 0, v11, s0
	v_cmp_le_u32_e32 vcc_lo, s4, v16
	s_delay_alu instid0(VALU_DEP_3) | instskip(SKIP_1) | instid1(VALU_DEP_4)
	v_cmp_eq_u32_e64 s0, s5, v9
	v_cndmask_b32_e64 v16, 0, -1, vcc_lo
	v_cmp_le_u32_e32 vcc_lo, s5, v11
	v_cndmask_b32_e64 v17, 0, -1, vcc_lo
	v_cmp_le_u32_e32 vcc_lo, s4, v8
	;; [unrolled: 2-line block ×3, first 2 shown]
	v_cndmask_b32_e64 v18, 0, -1, vcc_lo
	v_cmp_eq_u32_e32 vcc_lo, s5, v11
	s_delay_alu instid0(VALU_DEP_2) | instskip(SKIP_3) | instid1(VALU_DEP_3)
	v_cndmask_b32_e64 v8, v18, v8, s0
	v_cndmask_b32_e32 v11, v17, v16, vcc_lo
	v_add_co_u32 v16, vcc_lo, v3, 1
	v_add_co_ci_u32_e32 v17, vcc_lo, 0, v10, vcc_lo
	v_cmp_ne_u32_e32 vcc_lo, 0, v11
	s_delay_alu instid0(VALU_DEP_2) | instskip(NEXT) | instid1(VALU_DEP_4)
	v_cndmask_b32_e32 v9, v17, v13, vcc_lo
	v_cndmask_b32_e32 v11, v16, v12, vcc_lo
	v_cmp_ne_u32_e32 vcc_lo, 0, v8
	v_xor_b32_e32 v8, s2, v15
	s_delay_alu instid0(VALU_DEP_3) | instskip(SKIP_2) | instid1(VALU_DEP_3)
	v_cndmask_b32_e32 v3, v3, v11, vcc_lo
	v_cndmask_b32_e32 v9, v10, v9, vcc_lo
	v_xor_b32_e32 v10, s3, v15
	v_xor_b32_e32 v3, v3, v8
	s_delay_alu instid0(VALU_DEP_2) | instskip(NEXT) | instid1(VALU_DEP_2)
	v_xor_b32_e32 v9, v9, v10
	v_sub_co_u32 v8, vcc_lo, v3, v8
	s_delay_alu instid0(VALU_DEP_2)
	v_sub_co_ci_u32_e32 v9, vcc_lo, v9, v10, vcc_lo
.LBB6_5:                                ;   in Loop: Header=BB6_3 Depth=1
	s_and_not1_saveexec_b32 s0, s1
	s_cbranch_execz .LBB6_7
; %bb.6:                                ;   in Loop: Header=BB6_3 Depth=1
	s_sub_i32 s1, 0, s27
	s_delay_alu instid0(SALU_CYCLE_1) | instskip(NEXT) | instid1(VALU_DEP_1)
	v_mul_lo_u32 v3, s1, v14
	v_mul_hi_u32 v3, v14, v3
	s_delay_alu instid0(VALU_DEP_1) | instskip(NEXT) | instid1(VALU_DEP_1)
	v_add_nc_u32_e32 v3, v14, v3
	v_mul_hi_u32 v3, v4, v3
	s_delay_alu instid0(VALU_DEP_1) | instskip(SKIP_1) | instid1(VALU_DEP_2)
	v_mul_lo_u32 v8, v3, s27
	v_add_nc_u32_e32 v9, 1, v3
	v_sub_nc_u32_e32 v8, v4, v8
	s_delay_alu instid0(VALU_DEP_1) | instskip(SKIP_1) | instid1(VALU_DEP_2)
	v_subrev_nc_u32_e32 v10, s27, v8
	v_cmp_le_u32_e32 vcc_lo, s27, v8
	v_dual_cndmask_b32 v8, v8, v10 :: v_dual_cndmask_b32 v3, v3, v9
	s_delay_alu instid0(VALU_DEP_1) | instskip(NEXT) | instid1(VALU_DEP_2)
	v_cmp_le_u32_e32 vcc_lo, s27, v8
	v_add_nc_u32_e32 v9, 1, v3
	s_delay_alu instid0(VALU_DEP_1)
	v_dual_cndmask_b32 v8, v3, v9 :: v_dual_mov_b32 v9, v2
.LBB6_7:                                ;   in Loop: Header=BB6_3 Depth=1
	s_or_b32 exec_lo, exec_lo, s0
	s_delay_alu instid0(VALU_DEP_1) | instskip(SKIP_1) | instid1(VALU_DEP_1)
	v_or_b32_e32 v3, s28, v9
                                        ; implicit-def: $vgpr10_vgpr11
	s_mov_b32 s0, exec_lo
	v_cmpx_ne_u64_e32 0, v[2:3]
	s_xor_b32 s1, exec_lo, s0
	s_cbranch_execz .LBB6_9
; %bb.8:                                ;   in Loop: Header=BB6_3 Depth=1
	s_add_u32 s4, s29, s28
	s_mov_b32 s2, s28
	s_mov_b32 s3, s28
	s_addc_u32 s5, s28, s28
	s_delay_alu instid0(SALU_CYCLE_1) | instskip(NEXT) | instid1(SALU_CYCLE_1)
	s_xor_b64 s[4:5], s[4:5], s[2:3]
	v_cvt_f32_u32_e32 v3, s4
	v_cvt_f32_u32_e32 v10, s5
	s_sub_u32 s0, 0, s4
	s_subb_u32 s50, 0, s5
	s_delay_alu instid0(VALU_DEP_1) | instskip(NEXT) | instid1(VALU_DEP_1)
	v_fmac_f32_e32 v3, 0x4f800000, v10
	v_rcp_f32_e32 v3, v3
	s_waitcnt_depctr 0xfff
	v_mul_f32_e32 v3, 0x5f7ffffc, v3
	s_delay_alu instid0(VALU_DEP_1) | instskip(NEXT) | instid1(VALU_DEP_1)
	v_mul_f32_e32 v10, 0x2f800000, v3
	v_trunc_f32_e32 v10, v10
	s_delay_alu instid0(VALU_DEP_1) | instskip(SKIP_1) | instid1(VALU_DEP_2)
	v_fmac_f32_e32 v3, 0xcf800000, v10
	v_cvt_u32_f32_e32 v10, v10
	v_cvt_u32_f32_e32 v3, v3
	s_delay_alu instid0(VALU_DEP_2) | instskip(NEXT) | instid1(VALU_DEP_2)
	v_mul_lo_u32 v11, s0, v10
	v_mul_hi_u32 v12, s0, v3
	v_mul_lo_u32 v13, s50, v3
	s_delay_alu instid0(VALU_DEP_2) | instskip(SKIP_1) | instid1(VALU_DEP_2)
	v_add_nc_u32_e32 v11, v12, v11
	v_mul_lo_u32 v12, s0, v3
	v_add_nc_u32_e32 v11, v11, v13
	s_delay_alu instid0(VALU_DEP_2) | instskip(NEXT) | instid1(VALU_DEP_2)
	v_mul_hi_u32 v13, v3, v12
	v_mul_lo_u32 v15, v3, v11
	v_mul_hi_u32 v16, v3, v11
	v_mul_hi_u32 v17, v10, v12
	v_mul_lo_u32 v12, v10, v12
	v_mul_hi_u32 v18, v10, v11
	v_mul_lo_u32 v11, v10, v11
	v_add_co_u32 v13, vcc_lo, v13, v15
	v_add_co_ci_u32_e32 v15, vcc_lo, 0, v16, vcc_lo
	s_delay_alu instid0(VALU_DEP_2) | instskip(NEXT) | instid1(VALU_DEP_2)
	v_add_co_u32 v12, vcc_lo, v13, v12
	v_add_co_ci_u32_e32 v12, vcc_lo, v15, v17, vcc_lo
	v_add_co_ci_u32_e32 v13, vcc_lo, 0, v18, vcc_lo
	v_ashrrev_i32_e32 v17, 31, v9
	s_delay_alu instid0(VALU_DEP_3) | instskip(NEXT) | instid1(VALU_DEP_3)
	v_add_co_u32 v11, vcc_lo, v12, v11
	v_add_co_ci_u32_e32 v12, vcc_lo, 0, v13, vcc_lo
	s_delay_alu instid0(VALU_DEP_2) | instskip(NEXT) | instid1(VALU_DEP_2)
	v_add_co_u32 v3, vcc_lo, v3, v11
	v_add_co_ci_u32_e32 v10, vcc_lo, v10, v12, vcc_lo
	s_delay_alu instid0(VALU_DEP_2) | instskip(SKIP_1) | instid1(VALU_DEP_3)
	v_mul_hi_u32 v11, s0, v3
	v_mul_lo_u32 v13, s50, v3
	v_mul_lo_u32 v12, s0, v10
	s_delay_alu instid0(VALU_DEP_1) | instskip(SKIP_1) | instid1(VALU_DEP_2)
	v_add_nc_u32_e32 v11, v11, v12
	v_mul_lo_u32 v12, s0, v3
	v_add_nc_u32_e32 v11, v11, v13
	s_delay_alu instid0(VALU_DEP_2) | instskip(NEXT) | instid1(VALU_DEP_2)
	v_mul_hi_u32 v13, v3, v12
	v_mul_lo_u32 v15, v3, v11
	v_mul_hi_u32 v16, v3, v11
	v_mul_hi_u32 v18, v10, v12
	v_mul_lo_u32 v12, v10, v12
	v_mul_hi_u32 v19, v10, v11
	v_mul_lo_u32 v11, v10, v11
	v_add_co_u32 v13, vcc_lo, v13, v15
	v_add_co_ci_u32_e32 v15, vcc_lo, 0, v16, vcc_lo
	s_delay_alu instid0(VALU_DEP_2) | instskip(NEXT) | instid1(VALU_DEP_2)
	v_add_co_u32 v12, vcc_lo, v13, v12
	v_add_co_ci_u32_e32 v12, vcc_lo, v15, v18, vcc_lo
	v_add_co_ci_u32_e32 v13, vcc_lo, 0, v19, vcc_lo
	v_add_co_u32 v15, vcc_lo, v8, v17
	v_add_co_ci_u32_e32 v16, vcc_lo, v9, v17, vcc_lo
	s_delay_alu instid0(VALU_DEP_4) | instskip(NEXT) | instid1(VALU_DEP_4)
	v_add_co_u32 v11, vcc_lo, v12, v11
	v_add_co_ci_u32_e32 v12, vcc_lo, 0, v13, vcc_lo
	s_delay_alu instid0(VALU_DEP_4) | instskip(NEXT) | instid1(VALU_DEP_3)
	v_xor_b32_e32 v18, v15, v17
	v_add_co_u32 v3, vcc_lo, v3, v11
	s_delay_alu instid0(VALU_DEP_3) | instskip(SKIP_1) | instid1(VALU_DEP_3)
	v_add_co_ci_u32_e32 v19, vcc_lo, v10, v12, vcc_lo
	v_xor_b32_e32 v20, v16, v17
	v_mul_hi_u32 v21, v18, v3
	s_delay_alu instid0(VALU_DEP_3) | instskip(NEXT) | instid1(VALU_DEP_3)
	v_mad_u64_u32 v[10:11], null, v18, v19, 0
	v_mad_u64_u32 v[12:13], null, v20, v3, 0
	;; [unrolled: 1-line block ×3, first 2 shown]
	s_delay_alu instid0(VALU_DEP_3) | instskip(NEXT) | instid1(VALU_DEP_4)
	v_add_co_u32 v3, vcc_lo, v21, v10
	v_add_co_ci_u32_e32 v10, vcc_lo, 0, v11, vcc_lo
	s_delay_alu instid0(VALU_DEP_2) | instskip(NEXT) | instid1(VALU_DEP_2)
	v_add_co_u32 v3, vcc_lo, v3, v12
	v_add_co_ci_u32_e32 v3, vcc_lo, v10, v13, vcc_lo
	v_add_co_ci_u32_e32 v10, vcc_lo, 0, v16, vcc_lo
	s_delay_alu instid0(VALU_DEP_2) | instskip(NEXT) | instid1(VALU_DEP_2)
	v_add_co_u32 v3, vcc_lo, v3, v15
	v_add_co_ci_u32_e32 v12, vcc_lo, 0, v10, vcc_lo
	s_delay_alu instid0(VALU_DEP_2) | instskip(SKIP_1) | instid1(VALU_DEP_3)
	v_mul_lo_u32 v13, s5, v3
	v_mad_u64_u32 v[10:11], null, s4, v3, 0
	v_mul_lo_u32 v15, s4, v12
	s_delay_alu instid0(VALU_DEP_2) | instskip(NEXT) | instid1(VALU_DEP_2)
	v_sub_co_u32 v10, vcc_lo, v18, v10
	v_add3_u32 v11, v11, v15, v13
	s_delay_alu instid0(VALU_DEP_1) | instskip(NEXT) | instid1(VALU_DEP_1)
	v_sub_nc_u32_e32 v13, v20, v11
	v_subrev_co_ci_u32_e64 v13, s0, s5, v13, vcc_lo
	v_add_co_u32 v15, s0, v3, 2
	s_delay_alu instid0(VALU_DEP_1) | instskip(SKIP_3) | instid1(VALU_DEP_3)
	v_add_co_ci_u32_e64 v16, s0, 0, v12, s0
	v_sub_co_u32 v18, s0, v10, s4
	v_sub_co_ci_u32_e32 v11, vcc_lo, v20, v11, vcc_lo
	v_subrev_co_ci_u32_e64 v13, s0, 0, v13, s0
	v_cmp_le_u32_e32 vcc_lo, s4, v18
	s_delay_alu instid0(VALU_DEP_3) | instskip(SKIP_1) | instid1(VALU_DEP_4)
	v_cmp_eq_u32_e64 s0, s5, v11
	v_cndmask_b32_e64 v18, 0, -1, vcc_lo
	v_cmp_le_u32_e32 vcc_lo, s5, v13
	v_cndmask_b32_e64 v19, 0, -1, vcc_lo
	v_cmp_le_u32_e32 vcc_lo, s4, v10
	;; [unrolled: 2-line block ×3, first 2 shown]
	v_cndmask_b32_e64 v20, 0, -1, vcc_lo
	v_cmp_eq_u32_e32 vcc_lo, s5, v13
	s_delay_alu instid0(VALU_DEP_2) | instskip(SKIP_3) | instid1(VALU_DEP_3)
	v_cndmask_b32_e64 v10, v20, v10, s0
	v_cndmask_b32_e32 v13, v19, v18, vcc_lo
	v_add_co_u32 v18, vcc_lo, v3, 1
	v_add_co_ci_u32_e32 v19, vcc_lo, 0, v12, vcc_lo
	v_cmp_ne_u32_e32 vcc_lo, 0, v13
	s_delay_alu instid0(VALU_DEP_2) | instskip(NEXT) | instid1(VALU_DEP_4)
	v_cndmask_b32_e32 v11, v19, v16, vcc_lo
	v_cndmask_b32_e32 v13, v18, v15, vcc_lo
	v_cmp_ne_u32_e32 vcc_lo, 0, v10
	v_xor_b32_e32 v10, s2, v17
	s_delay_alu instid0(VALU_DEP_3) | instskip(SKIP_2) | instid1(VALU_DEP_3)
	v_cndmask_b32_e32 v3, v3, v13, vcc_lo
	v_cndmask_b32_e32 v11, v12, v11, vcc_lo
	v_xor_b32_e32 v12, s3, v17
	v_xor_b32_e32 v3, v3, v10
	s_delay_alu instid0(VALU_DEP_2) | instskip(NEXT) | instid1(VALU_DEP_2)
	v_xor_b32_e32 v11, v11, v12
	v_sub_co_u32 v10, vcc_lo, v3, v10
	s_delay_alu instid0(VALU_DEP_2)
	v_sub_co_ci_u32_e32 v11, vcc_lo, v11, v12, vcc_lo
.LBB6_9:                                ;   in Loop: Header=BB6_3 Depth=1
	s_and_not1_saveexec_b32 s0, s1
	s_cbranch_execz .LBB6_11
; %bb.10:                               ;   in Loop: Header=BB6_3 Depth=1
	v_cvt_f32_u32_e32 v3, s29
	s_sub_i32 s1, 0, s29
	s_delay_alu instid0(VALU_DEP_1) | instskip(SKIP_2) | instid1(VALU_DEP_1)
	v_rcp_iflag_f32_e32 v3, v3
	s_waitcnt_depctr 0xfff
	v_mul_f32_e32 v3, 0x4f7ffffe, v3
	v_cvt_u32_f32_e32 v3, v3
	s_delay_alu instid0(VALU_DEP_1) | instskip(NEXT) | instid1(VALU_DEP_1)
	v_mul_lo_u32 v10, s1, v3
	v_mul_hi_u32 v10, v3, v10
	s_delay_alu instid0(VALU_DEP_1) | instskip(NEXT) | instid1(VALU_DEP_1)
	v_add_nc_u32_e32 v3, v3, v10
	v_mul_hi_u32 v3, v8, v3
	s_delay_alu instid0(VALU_DEP_1) | instskip(SKIP_1) | instid1(VALU_DEP_2)
	v_mul_lo_u32 v10, v3, s29
	v_add_nc_u32_e32 v11, 1, v3
	v_sub_nc_u32_e32 v10, v8, v10
	s_delay_alu instid0(VALU_DEP_1) | instskip(SKIP_1) | instid1(VALU_DEP_2)
	v_subrev_nc_u32_e32 v12, s29, v10
	v_cmp_le_u32_e32 vcc_lo, s29, v10
	v_dual_cndmask_b32 v10, v10, v12 :: v_dual_cndmask_b32 v3, v3, v11
	s_delay_alu instid0(VALU_DEP_1) | instskip(NEXT) | instid1(VALU_DEP_2)
	v_cmp_le_u32_e32 vcc_lo, s29, v10
	v_add_nc_u32_e32 v11, 1, v3
	s_delay_alu instid0(VALU_DEP_1)
	v_dual_cndmask_b32 v10, v3, v11 :: v_dual_mov_b32 v11, v2
.LBB6_11:                               ;   in Loop: Header=BB6_3 Depth=1
	s_or_b32 exec_lo, exec_lo, s0
	s_delay_alu instid0(VALU_DEP_1) | instskip(SKIP_1) | instid1(VALU_DEP_1)
	v_or_b32_e32 v3, s30, v11
                                        ; implicit-def: $vgpr12_vgpr13
	s_mov_b32 s0, exec_lo
	v_cmpx_ne_u64_e32 0, v[2:3]
	s_xor_b32 s1, exec_lo, s0
	s_cbranch_execz .LBB6_13
; %bb.12:                               ;   in Loop: Header=BB6_3 Depth=1
	s_add_u32 s4, s19, s30
	s_mov_b32 s2, s30
	s_mov_b32 s3, s30
	s_addc_u32 s5, s30, s30
	s_delay_alu instid0(SALU_CYCLE_1) | instskip(NEXT) | instid1(SALU_CYCLE_1)
	s_xor_b64 s[4:5], s[4:5], s[2:3]
	v_cvt_f32_u32_e32 v3, s4
	v_cvt_f32_u32_e32 v12, s5
	s_sub_u32 s0, 0, s4
	s_subb_u32 s50, 0, s5
	s_delay_alu instid0(VALU_DEP_1) | instskip(NEXT) | instid1(VALU_DEP_1)
	v_fmac_f32_e32 v3, 0x4f800000, v12
	v_rcp_f32_e32 v3, v3
	s_waitcnt_depctr 0xfff
	v_mul_f32_e32 v3, 0x5f7ffffc, v3
	s_delay_alu instid0(VALU_DEP_1) | instskip(NEXT) | instid1(VALU_DEP_1)
	v_mul_f32_e32 v12, 0x2f800000, v3
	v_trunc_f32_e32 v12, v12
	s_delay_alu instid0(VALU_DEP_1) | instskip(SKIP_1) | instid1(VALU_DEP_2)
	v_fmac_f32_e32 v3, 0xcf800000, v12
	v_cvt_u32_f32_e32 v12, v12
	v_cvt_u32_f32_e32 v3, v3
	s_delay_alu instid0(VALU_DEP_2) | instskip(NEXT) | instid1(VALU_DEP_2)
	v_mul_lo_u32 v13, s0, v12
	v_mul_hi_u32 v15, s0, v3
	v_mul_lo_u32 v16, s50, v3
	s_delay_alu instid0(VALU_DEP_2) | instskip(SKIP_1) | instid1(VALU_DEP_2)
	v_add_nc_u32_e32 v13, v15, v13
	v_mul_lo_u32 v15, s0, v3
	v_add_nc_u32_e32 v13, v13, v16
	s_delay_alu instid0(VALU_DEP_2) | instskip(NEXT) | instid1(VALU_DEP_2)
	v_mul_hi_u32 v16, v3, v15
	v_mul_lo_u32 v17, v3, v13
	v_mul_hi_u32 v18, v3, v13
	v_mul_hi_u32 v19, v12, v15
	v_mul_lo_u32 v15, v12, v15
	v_mul_hi_u32 v20, v12, v13
	v_mul_lo_u32 v13, v12, v13
	v_add_co_u32 v16, vcc_lo, v16, v17
	v_add_co_ci_u32_e32 v17, vcc_lo, 0, v18, vcc_lo
	s_delay_alu instid0(VALU_DEP_2) | instskip(NEXT) | instid1(VALU_DEP_2)
	v_add_co_u32 v15, vcc_lo, v16, v15
	v_add_co_ci_u32_e32 v15, vcc_lo, v17, v19, vcc_lo
	v_add_co_ci_u32_e32 v16, vcc_lo, 0, v20, vcc_lo
	v_ashrrev_i32_e32 v19, 31, v11
	s_delay_alu instid0(VALU_DEP_3) | instskip(NEXT) | instid1(VALU_DEP_3)
	v_add_co_u32 v13, vcc_lo, v15, v13
	v_add_co_ci_u32_e32 v15, vcc_lo, 0, v16, vcc_lo
	s_delay_alu instid0(VALU_DEP_2) | instskip(NEXT) | instid1(VALU_DEP_2)
	v_add_co_u32 v3, vcc_lo, v3, v13
	v_add_co_ci_u32_e32 v12, vcc_lo, v12, v15, vcc_lo
	s_delay_alu instid0(VALU_DEP_2) | instskip(SKIP_1) | instid1(VALU_DEP_3)
	v_mul_hi_u32 v13, s0, v3
	v_mul_lo_u32 v16, s50, v3
	v_mul_lo_u32 v15, s0, v12
	s_delay_alu instid0(VALU_DEP_1) | instskip(SKIP_1) | instid1(VALU_DEP_2)
	v_add_nc_u32_e32 v13, v13, v15
	v_mul_lo_u32 v15, s0, v3
	v_add_nc_u32_e32 v13, v13, v16
	s_delay_alu instid0(VALU_DEP_2) | instskip(NEXT) | instid1(VALU_DEP_2)
	v_mul_hi_u32 v16, v3, v15
	v_mul_lo_u32 v17, v3, v13
	v_mul_hi_u32 v18, v3, v13
	v_mul_hi_u32 v20, v12, v15
	v_mul_lo_u32 v15, v12, v15
	v_mul_hi_u32 v21, v12, v13
	v_mul_lo_u32 v13, v12, v13
	v_add_co_u32 v16, vcc_lo, v16, v17
	v_add_co_ci_u32_e32 v17, vcc_lo, 0, v18, vcc_lo
	s_delay_alu instid0(VALU_DEP_2) | instskip(NEXT) | instid1(VALU_DEP_2)
	v_add_co_u32 v15, vcc_lo, v16, v15
	v_add_co_ci_u32_e32 v15, vcc_lo, v17, v20, vcc_lo
	v_add_co_ci_u32_e32 v16, vcc_lo, 0, v21, vcc_lo
	v_add_co_u32 v17, vcc_lo, v10, v19
	v_add_co_ci_u32_e32 v18, vcc_lo, v11, v19, vcc_lo
	s_delay_alu instid0(VALU_DEP_4) | instskip(NEXT) | instid1(VALU_DEP_4)
	v_add_co_u32 v13, vcc_lo, v15, v13
	v_add_co_ci_u32_e32 v15, vcc_lo, 0, v16, vcc_lo
	s_delay_alu instid0(VALU_DEP_4) | instskip(NEXT) | instid1(VALU_DEP_3)
	v_xor_b32_e32 v20, v17, v19
	v_add_co_u32 v3, vcc_lo, v3, v13
	s_delay_alu instid0(VALU_DEP_3) | instskip(SKIP_1) | instid1(VALU_DEP_3)
	v_add_co_ci_u32_e32 v21, vcc_lo, v12, v15, vcc_lo
	v_xor_b32_e32 v22, v18, v19
	v_mul_hi_u32 v23, v20, v3
	s_delay_alu instid0(VALU_DEP_3) | instskip(NEXT) | instid1(VALU_DEP_3)
	v_mad_u64_u32 v[12:13], null, v20, v21, 0
	v_mad_u64_u32 v[15:16], null, v22, v3, 0
	;; [unrolled: 1-line block ×3, first 2 shown]
	s_delay_alu instid0(VALU_DEP_3) | instskip(NEXT) | instid1(VALU_DEP_4)
	v_add_co_u32 v3, vcc_lo, v23, v12
	v_add_co_ci_u32_e32 v12, vcc_lo, 0, v13, vcc_lo
	s_delay_alu instid0(VALU_DEP_2) | instskip(NEXT) | instid1(VALU_DEP_2)
	v_add_co_u32 v3, vcc_lo, v3, v15
	v_add_co_ci_u32_e32 v3, vcc_lo, v12, v16, vcc_lo
	v_add_co_ci_u32_e32 v12, vcc_lo, 0, v18, vcc_lo
	s_delay_alu instid0(VALU_DEP_2) | instskip(NEXT) | instid1(VALU_DEP_2)
	v_add_co_u32 v3, vcc_lo, v3, v17
	v_add_co_ci_u32_e32 v15, vcc_lo, 0, v12, vcc_lo
	s_delay_alu instid0(VALU_DEP_2) | instskip(SKIP_1) | instid1(VALU_DEP_3)
	v_mul_lo_u32 v16, s5, v3
	v_mad_u64_u32 v[12:13], null, s4, v3, 0
	v_mul_lo_u32 v17, s4, v15
	s_delay_alu instid0(VALU_DEP_2) | instskip(NEXT) | instid1(VALU_DEP_2)
	v_sub_co_u32 v12, vcc_lo, v20, v12
	v_add3_u32 v13, v13, v17, v16
	s_delay_alu instid0(VALU_DEP_1) | instskip(NEXT) | instid1(VALU_DEP_1)
	v_sub_nc_u32_e32 v16, v22, v13
	v_subrev_co_ci_u32_e64 v16, s0, s5, v16, vcc_lo
	v_add_co_u32 v17, s0, v3, 2
	s_delay_alu instid0(VALU_DEP_1) | instskip(SKIP_3) | instid1(VALU_DEP_3)
	v_add_co_ci_u32_e64 v18, s0, 0, v15, s0
	v_sub_co_u32 v20, s0, v12, s4
	v_sub_co_ci_u32_e32 v13, vcc_lo, v22, v13, vcc_lo
	v_subrev_co_ci_u32_e64 v16, s0, 0, v16, s0
	v_cmp_le_u32_e32 vcc_lo, s4, v20
	s_delay_alu instid0(VALU_DEP_3) | instskip(SKIP_1) | instid1(VALU_DEP_4)
	v_cmp_eq_u32_e64 s0, s5, v13
	v_cndmask_b32_e64 v20, 0, -1, vcc_lo
	v_cmp_le_u32_e32 vcc_lo, s5, v16
	v_cndmask_b32_e64 v21, 0, -1, vcc_lo
	v_cmp_le_u32_e32 vcc_lo, s4, v12
	;; [unrolled: 2-line block ×3, first 2 shown]
	v_cndmask_b32_e64 v22, 0, -1, vcc_lo
	v_cmp_eq_u32_e32 vcc_lo, s5, v16
	s_delay_alu instid0(VALU_DEP_2) | instskip(SKIP_3) | instid1(VALU_DEP_3)
	v_cndmask_b32_e64 v12, v22, v12, s0
	v_cndmask_b32_e32 v16, v21, v20, vcc_lo
	v_add_co_u32 v20, vcc_lo, v3, 1
	v_add_co_ci_u32_e32 v21, vcc_lo, 0, v15, vcc_lo
	v_cmp_ne_u32_e32 vcc_lo, 0, v16
	s_delay_alu instid0(VALU_DEP_2) | instskip(SKIP_2) | instid1(VALU_DEP_3)
	v_dual_cndmask_b32 v13, v21, v18 :: v_dual_cndmask_b32 v16, v20, v17
	v_cmp_ne_u32_e32 vcc_lo, 0, v12
	v_xor_b32_e32 v12, s2, v19
	v_cndmask_b32_e32 v3, v3, v16, vcc_lo
	s_delay_alu instid0(VALU_DEP_4) | instskip(SKIP_1) | instid1(VALU_DEP_3)
	v_cndmask_b32_e32 v13, v15, v13, vcc_lo
	v_xor_b32_e32 v15, s3, v19
	v_xor_b32_e32 v3, v3, v12
	s_delay_alu instid0(VALU_DEP_2) | instskip(NEXT) | instid1(VALU_DEP_2)
	v_xor_b32_e32 v13, v13, v15
	v_sub_co_u32 v12, vcc_lo, v3, v12
	s_delay_alu instid0(VALU_DEP_2)
	v_sub_co_ci_u32_e32 v13, vcc_lo, v13, v15, vcc_lo
.LBB6_13:                               ;   in Loop: Header=BB6_3 Depth=1
	s_and_not1_saveexec_b32 s0, s1
	s_cbranch_execz .LBB6_15
; %bb.14:                               ;   in Loop: Header=BB6_3 Depth=1
	v_cvt_f32_u32_e32 v3, s19
	s_sub_i32 s1, 0, s19
	s_delay_alu instid0(VALU_DEP_1) | instskip(SKIP_2) | instid1(VALU_DEP_1)
	v_rcp_iflag_f32_e32 v3, v3
	s_waitcnt_depctr 0xfff
	v_mul_f32_e32 v3, 0x4f7ffffe, v3
	v_cvt_u32_f32_e32 v3, v3
	s_delay_alu instid0(VALU_DEP_1) | instskip(NEXT) | instid1(VALU_DEP_1)
	v_mul_lo_u32 v12, s1, v3
	v_mul_hi_u32 v12, v3, v12
	s_delay_alu instid0(VALU_DEP_1) | instskip(NEXT) | instid1(VALU_DEP_1)
	v_add_nc_u32_e32 v3, v3, v12
	v_mul_hi_u32 v3, v10, v3
	s_delay_alu instid0(VALU_DEP_1) | instskip(SKIP_1) | instid1(VALU_DEP_2)
	v_mul_lo_u32 v12, v3, s19
	v_add_nc_u32_e32 v13, 1, v3
	v_sub_nc_u32_e32 v12, v10, v12
	s_delay_alu instid0(VALU_DEP_1) | instskip(SKIP_1) | instid1(VALU_DEP_2)
	v_subrev_nc_u32_e32 v15, s19, v12
	v_cmp_le_u32_e32 vcc_lo, s19, v12
	v_dual_cndmask_b32 v12, v12, v15 :: v_dual_cndmask_b32 v3, v3, v13
	s_delay_alu instid0(VALU_DEP_1) | instskip(NEXT) | instid1(VALU_DEP_2)
	v_cmp_le_u32_e32 vcc_lo, s19, v12
	v_add_nc_u32_e32 v13, 1, v3
	s_delay_alu instid0(VALU_DEP_1)
	v_dual_cndmask_b32 v12, v3, v13 :: v_dual_mov_b32 v13, v2
.LBB6_15:                               ;   in Loop: Header=BB6_3 Depth=1
	s_or_b32 exec_lo, exec_lo, s0
	v_mul_lo_u32 v3, v11, s29
	v_mul_lo_u32 v19, v10, s28
	v_mad_u64_u32 v[15:16], null, v10, s29, 0
	v_mul_lo_u32 v20, v13, s19
	v_mul_lo_u32 v21, v12, s30
	v_mad_u64_u32 v[17:18], null, v12, s19, 0
	v_mul_lo_u32 v23, v8, s26
	v_add3_u32 v3, v16, v19, v3
	v_sub_co_u32 v15, vcc_lo, v8, v15
	s_delay_alu instid0(VALU_DEP_4) | instskip(NEXT) | instid1(VALU_DEP_3)
	v_add3_u32 v22, v18, v21, v20
	v_sub_co_ci_u32_e32 v16, vcc_lo, v9, v3, vcc_lo
	v_sub_co_u32 v10, vcc_lo, v10, v17
	s_delay_alu instid0(VALU_DEP_3) | instskip(SKIP_2) | instid1(VALU_DEP_3)
	v_sub_co_ci_u32_e32 v11, vcc_lo, v11, v22, vcc_lo
	v_mul_lo_u32 v3, v9, s27
	v_mad_u64_u32 v[18:19], null, v8, s27, 0
	v_mul_lo_u32 v24, v11, s13
	v_mul_lo_u32 v25, v10, s31
	v_mad_u64_u32 v[8:9], null, v10, s13, 0
	v_mul_lo_u32 v26, v16, s36
	v_mul_lo_u32 v27, v15, s35
	v_mad_u64_u32 v[20:21], null, v15, s36, 0
	v_add3_u32 v3, v19, v23, v3
	v_sub_co_u32 v18, vcc_lo, v4, v18
	s_delay_alu instid0(VALU_DEP_2)
	v_sub_co_ci_u32_e32 v19, vcc_lo, v5, v3, vcc_lo
	v_add3_u32 v3, v9, v25, v24
	v_add3_u32 v23, v21, v27, v26
	v_mul_lo_u32 v24, v22, s43
	v_mad_u64_u32 v[21:22], null, v17, s43, v[10:11]
	v_mul_lo_u32 v17, v17, s42
	v_sub_co_u32 v8, vcc_lo, v8, s34
	v_subrev_co_ci_u32_e32 v9, vcc_lo, s33, v3, vcc_lo
	v_sub_co_u32 v10, vcc_lo, v20, s38
	v_subrev_co_ci_u32_e32 v11, vcc_lo, s37, v23, vcc_lo
	v_add3_u32 v17, v24, v22, v17
	s_delay_alu instid0(VALU_DEP_4)
	v_mad_u64_u32 v[22:23], null, v12, s10, v[8:9]
	v_mul_lo_u32 v20, v12, s11
	v_mul_lo_u32 v26, v13, s10
	;; [unrolled: 1-line block ×4, first 2 shown]
	v_mad_u64_u32 v[12:13], null, v18, s40, 0
	v_mul_lo_u32 v17, v17, s29
	v_mad_u64_u32 v[24:25], null, v21, s29, v[15:16]
	v_add3_u32 v20, v26, v23, v20
	v_mul_lo_u32 v21, v21, s28
	v_mad_u64_u32 v[15:16], null, v22, s14, v[10:11]
	v_mul_lo_u32 v22, v22, s15
	s_delay_alu instid0(VALU_DEP_4) | instskip(SKIP_4) | instid1(VALU_DEP_4)
	v_mul_lo_u32 v20, v20, s14
	v_add3_u32 v3, v13, v27, v3
	v_sub_co_u32 v12, vcc_lo, v12, s12
	v_add3_u32 v17, v17, v25, v21
	v_mul_lo_u32 v21, v24, s26
	v_subrev_co_ci_u32_e32 v13, vcc_lo, s41, v3, vcc_lo
	v_add3_u32 v20, v20, v16, v22
	s_delay_alu instid0(VALU_DEP_4) | instskip(SKIP_2) | instid1(VALU_DEP_4)
	v_mul_lo_u32 v3, v17, s27
	v_mad_u64_u32 v[16:17], null, v24, s27, v[18:19]
	v_mul_lo_u32 v22, v15, s25
	v_mul_lo_u32 v20, v20, s24
	v_mad_u64_u32 v[18:19], null, v15, s24, v[12:13]
	s_delay_alu instid0(VALU_DEP_4) | instskip(NEXT) | instid1(VALU_DEP_2)
	v_add3_u32 v17, v3, v17, v21
	v_add3_u32 v19, v20, v19, v22
	s_delay_alu instid0(VALU_DEP_2) | instskip(NEXT) | instid1(VALU_DEP_2)
	v_lshlrev_b64 v[15:16], 1, v[16:17]
	v_lshlrev_b64 v[17:18], 1, v[18:19]
	s_delay_alu instid0(VALU_DEP_2) | instskip(NEXT) | instid1(VALU_DEP_3)
	v_add_co_u32 v6, vcc_lo, v6, v15
	v_add_co_ci_u32_e32 v7, vcc_lo, v7, v16, vcc_lo
	s_delay_alu instid0(VALU_DEP_3) | instskip(NEXT) | instid1(VALU_DEP_4)
	v_add_co_u32 v0, vcc_lo, v0, v17
	v_add_co_ci_u32_e32 v1, vcc_lo, v1, v18, vcc_lo
	s_and_not1_b32 vcc_lo, exec_lo, s44
	s_cbranch_vccnz .LBB6_2
; %bb.16:                               ;   in Loop: Header=BB6_3 Depth=1
	s_mov_b32 s3, 0
	s_mov_b32 s4, 0
	s_branch .LBB6_18
.LBB6_17:                               ;   in Loop: Header=BB6_18 Depth=2
	s_add_i32 s4, s4, 1
	s_add_i32 s3, s3, s49
	s_cmp_eq_u32 s4, s7
	s_cbranch_scc1 .LBB6_2
.LBB6_18:                               ;   Parent Loop BB6_3 Depth=1
                                        ; =>  This Loop Header: Depth=2
                                        ;       Child Loop BB6_21 Depth 3
                                        ;         Child Loop BB6_24 Depth 4
	s_and_not1_b32 vcc_lo, exec_lo, s45
	s_cbranch_vccnz .LBB6_17
; %bb.19:                               ;   in Loop: Header=BB6_18 Depth=2
	s_mul_i32 s0, s4, s16
	s_mov_b32 s5, 0
	s_ashr_i32 s1, s0, 31
	v_add_co_u32 v15, vcc_lo, v8, s0
	v_add_co_ci_u32_e32 v16, vcc_lo, s1, v9, vcc_lo
	s_mov_b32 s50, s3
	s_delay_alu instid0(VALU_DEP_1)
	v_cmp_lt_i64_e64 s0, -1, v[15:16]
	v_cmp_gt_i64_e64 s1, s[10:11], v[15:16]
	s_branch .LBB6_21
.LBB6_20:                               ;   in Loop: Header=BB6_21 Depth=3
	s_set_inst_prefetch_distance 0x2
	s_add_i32 s5, s5, 1
	s_add_i32 s50, s50, s6
	s_cmp_eq_u32 s5, s8
	s_cbranch_scc1 .LBB6_17
.LBB6_21:                               ;   Parent Loop BB6_3 Depth=1
                                        ;     Parent Loop BB6_18 Depth=2
                                        ; =>    This Loop Header: Depth=3
                                        ;         Child Loop BB6_24 Depth 4
	s_and_not1_b32 vcc_lo, exec_lo, s47
	s_cbranch_vccnz .LBB6_20
; %bb.22:                               ;   in Loop: Header=BB6_21 Depth=3
	s_mul_i32 s2, s5, s17
	s_mov_b32 s53, s9
	s_ashr_i32 s51, s2, 31
	v_add_co_u32 v15, vcc_lo, v10, s2
	v_add_co_ci_u32_e32 v16, vcc_lo, s51, v11, vcc_lo
	s_mov_b32 s51, 0
	s_delay_alu instid0(VALU_DEP_1) | instskip(SKIP_1) | instid1(VALU_DEP_2)
	v_cmp_lt_i64_e64 s2, -1, v[15:16]
	v_cmp_gt_i64_e32 vcc_lo, s[14:15], v[15:16]
	s_and_b32 s52, s0, s2
	s_set_inst_prefetch_distance 0x1
	s_branch .LBB6_24
	.p2align	6
.LBB6_23:                               ;   in Loop: Header=BB6_24 Depth=4
	s_or_b32 exec_lo, exec_lo, s54
	s_waitcnt vmcnt(0)
	global_store_b16 v[6:7], v3, off
	v_add_co_u32 v6, s2, v6, s22
	s_delay_alu instid0(VALU_DEP_1)
	v_add_co_ci_u32_e64 v7, s2, s23, v7, s2
	s_add_i32 s53, s53, -1
	s_add_i32 s51, s51, s18
	s_cmp_eq_u32 s53, 0
	s_cbranch_scc1 .LBB6_20
.LBB6_24:                               ;   Parent Loop BB6_3 Depth=1
                                        ;     Parent Loop BB6_18 Depth=2
                                        ;       Parent Loop BB6_21 Depth=3
                                        ; =>      This Inner Loop Header: Depth=4
	s_ashr_i32 s54, s51, 31
	v_add_co_u32 v15, s2, v12, s51
	s_delay_alu instid0(VALU_DEP_1) | instskip(SKIP_1) | instid1(VALU_DEP_2)
	v_add_co_ci_u32_e64 v16, s2, s54, v13, s2
	v_mov_b32_e32 v3, 0
	v_cmp_lt_i64_e64 s2, -1, v[15:16]
	s_delay_alu instid0(VALU_DEP_1) | instskip(SKIP_2) | instid1(SALU_CYCLE_1)
	s_and_b32 s54, s52, s2
	v_cmp_gt_i64_e64 s2, s[24:25], v[15:16]
	s_and_b32 s54, s1, s54
	s_and_b32 s54, s54, vcc_lo
	s_delay_alu instid0(VALU_DEP_1) | instid1(SALU_CYCLE_1)
	s_and_b32 s2, s54, s2
	s_delay_alu instid0(SALU_CYCLE_1)
	s_and_saveexec_b32 s54, s2
	s_cbranch_execz .LBB6_23
; %bb.25:                               ;   in Loop: Header=BB6_24 Depth=4
	s_add_i32 s56, s50, s51
	s_delay_alu instid0(SALU_CYCLE_1) | instskip(NEXT) | instid1(SALU_CYCLE_1)
	s_ashr_i32 s57, s56, 31
	s_lshl_b64 s[56:57], s[56:57], 1
	s_delay_alu instid0(SALU_CYCLE_1) | instskip(NEXT) | instid1(VALU_DEP_1)
	v_add_co_u32 v15, s2, v0, s56
	v_add_co_ci_u32_e64 v16, s2, s57, v1, s2
	global_load_u16 v3, v[15:16], off
	s_branch .LBB6_23
.LBB6_26:
	s_nop 0
	s_sendmsg sendmsg(MSG_DEALLOC_VGPRS)
	s_endpgm
	.section	.rodata,"a",@progbits
	.p2align	6, 0x0
	.amdhsa_kernel _ZN2at6native14vol2col_kernelIN3c104HalfEEEvlPKT_iiiiiiiiiiiiiiiiiiPS4_
		.amdhsa_group_segment_fixed_size 0
		.amdhsa_private_segment_fixed_size 0
		.amdhsa_kernarg_size 352
		.amdhsa_user_sgpr_count 15
		.amdhsa_user_sgpr_dispatch_ptr 0
		.amdhsa_user_sgpr_queue_ptr 0
		.amdhsa_user_sgpr_kernarg_segment_ptr 1
		.amdhsa_user_sgpr_dispatch_id 0
		.amdhsa_user_sgpr_private_segment_size 0
		.amdhsa_wavefront_size32 1
		.amdhsa_uses_dynamic_stack 0
		.amdhsa_enable_private_segment 0
		.amdhsa_system_sgpr_workgroup_id_x 1
		.amdhsa_system_sgpr_workgroup_id_y 0
		.amdhsa_system_sgpr_workgroup_id_z 0
		.amdhsa_system_sgpr_workgroup_info 0
		.amdhsa_system_vgpr_workitem_id 0
		.amdhsa_next_free_vgpr 28
		.amdhsa_next_free_sgpr 58
		.amdhsa_reserve_vcc 1
		.amdhsa_float_round_mode_32 0
		.amdhsa_float_round_mode_16_64 0
		.amdhsa_float_denorm_mode_32 3
		.amdhsa_float_denorm_mode_16_64 3
		.amdhsa_dx10_clamp 1
		.amdhsa_ieee_mode 1
		.amdhsa_fp16_overflow 0
		.amdhsa_workgroup_processor_mode 1
		.amdhsa_memory_ordered 1
		.amdhsa_forward_progress 0
		.amdhsa_shared_vgpr_count 0
		.amdhsa_exception_fp_ieee_invalid_op 0
		.amdhsa_exception_fp_denorm_src 0
		.amdhsa_exception_fp_ieee_div_zero 0
		.amdhsa_exception_fp_ieee_overflow 0
		.amdhsa_exception_fp_ieee_underflow 0
		.amdhsa_exception_fp_ieee_inexact 0
		.amdhsa_exception_int_div_zero 0
	.end_amdhsa_kernel
	.section	.text._ZN2at6native14vol2col_kernelIN3c104HalfEEEvlPKT_iiiiiiiiiiiiiiiiiiPS4_,"axG",@progbits,_ZN2at6native14vol2col_kernelIN3c104HalfEEEvlPKT_iiiiiiiiiiiiiiiiiiPS4_,comdat
.Lfunc_end6:
	.size	_ZN2at6native14vol2col_kernelIN3c104HalfEEEvlPKT_iiiiiiiiiiiiiiiiiiPS4_, .Lfunc_end6-_ZN2at6native14vol2col_kernelIN3c104HalfEEEvlPKT_iiiiiiiiiiiiiiiiiiPS4_
                                        ; -- End function
	.section	.AMDGPU.csdata,"",@progbits
; Kernel info:
; codeLenInByte = 4240
; NumSgprs: 60
; NumVgprs: 28
; ScratchSize: 0
; MemoryBound: 0
; FloatMode: 240
; IeeeMode: 1
; LDSByteSize: 0 bytes/workgroup (compile time only)
; SGPRBlocks: 7
; VGPRBlocks: 3
; NumSGPRsForWavesPerEU: 60
; NumVGPRsForWavesPerEU: 28
; Occupancy: 16
; WaveLimiterHint : 0
; COMPUTE_PGM_RSRC2:SCRATCH_EN: 0
; COMPUTE_PGM_RSRC2:USER_SGPR: 15
; COMPUTE_PGM_RSRC2:TRAP_HANDLER: 0
; COMPUTE_PGM_RSRC2:TGID_X_EN: 1
; COMPUTE_PGM_RSRC2:TGID_Y_EN: 0
; COMPUTE_PGM_RSRC2:TGID_Z_EN: 0
; COMPUTE_PGM_RSRC2:TIDIG_COMP_CNT: 0
	.section	.text._ZN2at6native14vol2col_kernelIN3c108BFloat16EEEvlPKT_iiiiiiiiiiiiiiiiiiPS4_,"axG",@progbits,_ZN2at6native14vol2col_kernelIN3c108BFloat16EEEvlPKT_iiiiiiiiiiiiiiiiiiPS4_,comdat
	.protected	_ZN2at6native14vol2col_kernelIN3c108BFloat16EEEvlPKT_iiiiiiiiiiiiiiiiiiPS4_ ; -- Begin function _ZN2at6native14vol2col_kernelIN3c108BFloat16EEEvlPKT_iiiiiiiiiiiiiiiiiiPS4_
	.globl	_ZN2at6native14vol2col_kernelIN3c108BFloat16EEEvlPKT_iiiiiiiiiiiiiiiiiiPS4_
	.p2align	8
	.type	_ZN2at6native14vol2col_kernelIN3c108BFloat16EEEvlPKT_iiiiiiiiiiiiiiiiiiPS4_,@function
_ZN2at6native14vol2col_kernelIN3c108BFloat16EEEvlPKT_iiiiiiiiiiiiiiiiiiPS4_: ; @_ZN2at6native14vol2col_kernelIN3c108BFloat16EEEvlPKT_iiiiiiiiiiiiiiiiiiPS4_
; %bb.0:
	s_clause 0x1
	s_load_b32 s2, s[0:1], 0x6c
	s_load_b128 s[20:23], s[0:1], 0x0
	v_mov_b32_e32 v2, 0
	s_add_u32 s24, s0, 0x60
	s_addc_u32 s25, s1, 0
	s_delay_alu instid0(VALU_DEP_1) | instskip(SKIP_3) | instid1(VALU_DEP_1)
	v_mov_b32_e32 v1, v2
	s_waitcnt lgkmcnt(0)
	s_and_b32 s48, s2, 0xffff
	s_mov_b32 s2, exec_lo
	v_mad_u64_u32 v[4:5], null, s48, s15, v[0:1]
	s_delay_alu instid0(VALU_DEP_1)
	v_cmpx_gt_i64_e64 s[20:21], v[4:5]
	s_cbranch_execz .LBB7_26
; %bb.1:
	s_clause 0x1
	s_load_b512 s[4:19], s[0:1], 0x10
	s_load_b128 s[0:3], s[0:1], 0x50
	s_load_b32 s49, s[24:25], 0x0
	s_mov_b32 s46, 0
	s_waitcnt lgkmcnt(0)
	s_ashr_i32 s33, s10, 31
	s_mov_b32 s27, s1
	s_mul_i32 s45, s0, s19
	v_cvt_f32_u32_e32 v0, s27
	s_ashr_i32 s28, s0, 31
	s_mov_b32 s29, s0
	s_ashr_i32 s0, s9, 31
	s_mov_b32 s34, s10
	v_rcp_iflag_f32_e32 v0, v0
	s_mul_i32 s10, s8, s7
	s_ashr_i32 s35, s14, 31
	s_mov_b32 s36, s14
	s_ashr_i32 s37, s11, 31
	s_mov_b32 s38, s11
	s_mul_i32 s0, s10, s0
	s_mul_hi_u32 s11, s10, s9
	s_mul_hi_i32 s14, s8, s7
	s_add_i32 s0, s11, s0
	s_mul_i32 s14, s14, s9
	s_ashr_i32 s26, s1, 31
	s_ashr_i32 s30, s19, 31
	;; [unrolled: 1-line block ×4, first 2 shown]
	s_mov_b32 s40, s15
	s_ashr_i32 s41, s12, 31
	s_add_i32 s42, s0, s14
	s_ashr_i32 s11, s4, 31
	s_ashr_i32 s15, s5, 31
	;; [unrolled: 1-line block ×3, first 2 shown]
	s_cmp_gt_i32 s7, 0
	s_waitcnt_depctr 0xfff
	v_dual_mul_f32 v3, 0x4f7ffffe, v0 :: v_dual_mov_b32 v0, s22
	s_cselect_b32 s44, -1, 0
	s_cmp_gt_i32 s8, 0
	s_mul_i32 s0, s45, s1
	s_cselect_b32 s45, -1, 0
	s_cmp_gt_i32 s9, 0
	v_mov_b32_e32 v7, s3
	v_dual_mov_b32 v1, s23 :: v_dual_mov_b32 v6, s2
	v_cvt_u32_f32_e32 v14, v3
	s_cselect_b32 s47, -1, 0
	s_ashr_i32 s1, s0, 31
	s_mul_i32 s48, s49, s48
	s_mul_i32 s49, s16, s6
	;; [unrolled: 1-line block ×3, first 2 shown]
	s_mov_b32 s10, s4
	s_mov_b32 s14, s5
	;; [unrolled: 1-line block ×3, first 2 shown]
	s_lshl_b64 s[22:23], s[0:1], 1
	s_mul_i32 s49, s49, s5
	s_mul_i32 s6, s17, s6
	s_branch .LBB7_3
.LBB7_2:                                ;   in Loop: Header=BB7_3 Depth=1
	v_add_co_u32 v4, vcc_lo, v4, s48
	v_add_co_ci_u32_e32 v5, vcc_lo, 0, v5, vcc_lo
	s_delay_alu instid0(VALU_DEP_1) | instskip(SKIP_1) | instid1(SALU_CYCLE_1)
	v_cmp_le_i64_e32 vcc_lo, s[20:21], v[4:5]
	s_or_b32 s46, vcc_lo, s46
	s_and_not1_b32 exec_lo, exec_lo, s46
	s_cbranch_execz .LBB7_26
.LBB7_3:                                ; =>This Loop Header: Depth=1
                                        ;     Child Loop BB7_18 Depth 2
                                        ;       Child Loop BB7_21 Depth 3
                                        ;         Child Loop BB7_24 Depth 4
	v_or_b32_e32 v3, s26, v5
                                        ; implicit-def: $vgpr8_vgpr9
	s_mov_b32 s0, exec_lo
	s_delay_alu instid0(VALU_DEP_1)
	v_cmpx_ne_u64_e32 0, v[2:3]
	s_xor_b32 s1, exec_lo, s0
	s_cbranch_execz .LBB7_5
; %bb.4:                                ;   in Loop: Header=BB7_3 Depth=1
	s_add_u32 s4, s27, s26
	s_mov_b32 s2, s26
	s_mov_b32 s3, s26
	s_addc_u32 s5, s26, s26
	s_delay_alu instid0(SALU_CYCLE_1) | instskip(NEXT) | instid1(SALU_CYCLE_1)
	s_xor_b64 s[4:5], s[4:5], s[2:3]
	v_cvt_f32_u32_e32 v3, s4
	v_cvt_f32_u32_e32 v8, s5
	s_sub_u32 s0, 0, s4
	s_subb_u32 s50, 0, s5
	s_delay_alu instid0(VALU_DEP_1) | instskip(NEXT) | instid1(VALU_DEP_1)
	v_fmac_f32_e32 v3, 0x4f800000, v8
	v_rcp_f32_e32 v3, v3
	s_waitcnt_depctr 0xfff
	v_mul_f32_e32 v3, 0x5f7ffffc, v3
	s_delay_alu instid0(VALU_DEP_1) | instskip(NEXT) | instid1(VALU_DEP_1)
	v_mul_f32_e32 v8, 0x2f800000, v3
	v_trunc_f32_e32 v8, v8
	s_delay_alu instid0(VALU_DEP_1) | instskip(SKIP_1) | instid1(VALU_DEP_2)
	v_fmac_f32_e32 v3, 0xcf800000, v8
	v_cvt_u32_f32_e32 v8, v8
	v_cvt_u32_f32_e32 v3, v3
	s_delay_alu instid0(VALU_DEP_2) | instskip(NEXT) | instid1(VALU_DEP_2)
	v_mul_lo_u32 v9, s0, v8
	v_mul_hi_u32 v10, s0, v3
	v_mul_lo_u32 v11, s50, v3
	s_delay_alu instid0(VALU_DEP_2) | instskip(SKIP_1) | instid1(VALU_DEP_2)
	v_add_nc_u32_e32 v9, v10, v9
	v_mul_lo_u32 v10, s0, v3
	v_add_nc_u32_e32 v9, v9, v11
	s_delay_alu instid0(VALU_DEP_2) | instskip(NEXT) | instid1(VALU_DEP_2)
	v_mul_hi_u32 v11, v3, v10
	v_mul_lo_u32 v12, v3, v9
	v_mul_hi_u32 v13, v3, v9
	v_mul_hi_u32 v15, v8, v10
	v_mul_lo_u32 v10, v8, v10
	v_mul_hi_u32 v16, v8, v9
	v_mul_lo_u32 v9, v8, v9
	v_add_co_u32 v11, vcc_lo, v11, v12
	v_add_co_ci_u32_e32 v12, vcc_lo, 0, v13, vcc_lo
	s_delay_alu instid0(VALU_DEP_2) | instskip(NEXT) | instid1(VALU_DEP_2)
	v_add_co_u32 v10, vcc_lo, v11, v10
	v_add_co_ci_u32_e32 v10, vcc_lo, v12, v15, vcc_lo
	v_add_co_ci_u32_e32 v11, vcc_lo, 0, v16, vcc_lo
	v_ashrrev_i32_e32 v15, 31, v5
	s_delay_alu instid0(VALU_DEP_3) | instskip(NEXT) | instid1(VALU_DEP_3)
	v_add_co_u32 v9, vcc_lo, v10, v9
	v_add_co_ci_u32_e32 v10, vcc_lo, 0, v11, vcc_lo
	s_delay_alu instid0(VALU_DEP_2) | instskip(NEXT) | instid1(VALU_DEP_2)
	v_add_co_u32 v3, vcc_lo, v3, v9
	v_add_co_ci_u32_e32 v8, vcc_lo, v8, v10, vcc_lo
	s_delay_alu instid0(VALU_DEP_2) | instskip(SKIP_1) | instid1(VALU_DEP_3)
	v_mul_hi_u32 v9, s0, v3
	v_mul_lo_u32 v11, s50, v3
	v_mul_lo_u32 v10, s0, v8
	s_delay_alu instid0(VALU_DEP_1) | instskip(SKIP_1) | instid1(VALU_DEP_2)
	v_add_nc_u32_e32 v9, v9, v10
	v_mul_lo_u32 v10, s0, v3
	v_add_nc_u32_e32 v9, v9, v11
	s_delay_alu instid0(VALU_DEP_2) | instskip(NEXT) | instid1(VALU_DEP_2)
	v_mul_hi_u32 v11, v3, v10
	v_mul_lo_u32 v12, v3, v9
	v_mul_hi_u32 v13, v3, v9
	v_mul_hi_u32 v16, v8, v10
	v_mul_lo_u32 v10, v8, v10
	v_mul_hi_u32 v17, v8, v9
	v_mul_lo_u32 v9, v8, v9
	v_add_co_u32 v11, vcc_lo, v11, v12
	v_add_co_ci_u32_e32 v12, vcc_lo, 0, v13, vcc_lo
	s_delay_alu instid0(VALU_DEP_2) | instskip(NEXT) | instid1(VALU_DEP_2)
	v_add_co_u32 v10, vcc_lo, v11, v10
	v_add_co_ci_u32_e32 v10, vcc_lo, v12, v16, vcc_lo
	v_add_co_ci_u32_e32 v11, vcc_lo, 0, v17, vcc_lo
	v_add_co_u32 v12, vcc_lo, v4, v15
	v_add_co_ci_u32_e32 v13, vcc_lo, v5, v15, vcc_lo
	s_delay_alu instid0(VALU_DEP_4) | instskip(NEXT) | instid1(VALU_DEP_4)
	v_add_co_u32 v9, vcc_lo, v10, v9
	v_add_co_ci_u32_e32 v10, vcc_lo, 0, v11, vcc_lo
	s_delay_alu instid0(VALU_DEP_4) | instskip(NEXT) | instid1(VALU_DEP_3)
	v_xor_b32_e32 v16, v12, v15
	v_add_co_u32 v3, vcc_lo, v3, v9
	s_delay_alu instid0(VALU_DEP_3) | instskip(SKIP_1) | instid1(VALU_DEP_3)
	v_add_co_ci_u32_e32 v17, vcc_lo, v8, v10, vcc_lo
	v_xor_b32_e32 v18, v13, v15
	v_mul_hi_u32 v19, v16, v3
	s_delay_alu instid0(VALU_DEP_3) | instskip(NEXT) | instid1(VALU_DEP_3)
	v_mad_u64_u32 v[8:9], null, v16, v17, 0
	v_mad_u64_u32 v[10:11], null, v18, v3, 0
	;; [unrolled: 1-line block ×3, first 2 shown]
	s_delay_alu instid0(VALU_DEP_3) | instskip(NEXT) | instid1(VALU_DEP_4)
	v_add_co_u32 v3, vcc_lo, v19, v8
	v_add_co_ci_u32_e32 v8, vcc_lo, 0, v9, vcc_lo
	s_delay_alu instid0(VALU_DEP_2) | instskip(NEXT) | instid1(VALU_DEP_2)
	v_add_co_u32 v3, vcc_lo, v3, v10
	v_add_co_ci_u32_e32 v3, vcc_lo, v8, v11, vcc_lo
	v_add_co_ci_u32_e32 v8, vcc_lo, 0, v13, vcc_lo
	s_delay_alu instid0(VALU_DEP_2) | instskip(NEXT) | instid1(VALU_DEP_2)
	v_add_co_u32 v3, vcc_lo, v3, v12
	v_add_co_ci_u32_e32 v10, vcc_lo, 0, v8, vcc_lo
	s_delay_alu instid0(VALU_DEP_2) | instskip(SKIP_1) | instid1(VALU_DEP_3)
	v_mul_lo_u32 v11, s5, v3
	v_mad_u64_u32 v[8:9], null, s4, v3, 0
	v_mul_lo_u32 v12, s4, v10
	s_delay_alu instid0(VALU_DEP_2) | instskip(NEXT) | instid1(VALU_DEP_2)
	v_sub_co_u32 v8, vcc_lo, v16, v8
	v_add3_u32 v9, v9, v12, v11
	s_delay_alu instid0(VALU_DEP_1) | instskip(NEXT) | instid1(VALU_DEP_1)
	v_sub_nc_u32_e32 v11, v18, v9
	v_subrev_co_ci_u32_e64 v11, s0, s5, v11, vcc_lo
	v_add_co_u32 v12, s0, v3, 2
	s_delay_alu instid0(VALU_DEP_1) | instskip(SKIP_3) | instid1(VALU_DEP_3)
	v_add_co_ci_u32_e64 v13, s0, 0, v10, s0
	v_sub_co_u32 v16, s0, v8, s4
	v_sub_co_ci_u32_e32 v9, vcc_lo, v18, v9, vcc_lo
	v_subrev_co_ci_u32_e64 v11, s0, 0, v11, s0
	v_cmp_le_u32_e32 vcc_lo, s4, v16
	s_delay_alu instid0(VALU_DEP_3) | instskip(SKIP_1) | instid1(VALU_DEP_4)
	v_cmp_eq_u32_e64 s0, s5, v9
	v_cndmask_b32_e64 v16, 0, -1, vcc_lo
	v_cmp_le_u32_e32 vcc_lo, s5, v11
	v_cndmask_b32_e64 v17, 0, -1, vcc_lo
	v_cmp_le_u32_e32 vcc_lo, s4, v8
	;; [unrolled: 2-line block ×3, first 2 shown]
	v_cndmask_b32_e64 v18, 0, -1, vcc_lo
	v_cmp_eq_u32_e32 vcc_lo, s5, v11
	s_delay_alu instid0(VALU_DEP_2) | instskip(SKIP_3) | instid1(VALU_DEP_3)
	v_cndmask_b32_e64 v8, v18, v8, s0
	v_cndmask_b32_e32 v11, v17, v16, vcc_lo
	v_add_co_u32 v16, vcc_lo, v3, 1
	v_add_co_ci_u32_e32 v17, vcc_lo, 0, v10, vcc_lo
	v_cmp_ne_u32_e32 vcc_lo, 0, v11
	s_delay_alu instid0(VALU_DEP_2) | instskip(NEXT) | instid1(VALU_DEP_4)
	v_cndmask_b32_e32 v9, v17, v13, vcc_lo
	v_cndmask_b32_e32 v11, v16, v12, vcc_lo
	v_cmp_ne_u32_e32 vcc_lo, 0, v8
	v_xor_b32_e32 v8, s2, v15
	s_delay_alu instid0(VALU_DEP_3) | instskip(SKIP_2) | instid1(VALU_DEP_3)
	v_cndmask_b32_e32 v3, v3, v11, vcc_lo
	v_cndmask_b32_e32 v9, v10, v9, vcc_lo
	v_xor_b32_e32 v10, s3, v15
	v_xor_b32_e32 v3, v3, v8
	s_delay_alu instid0(VALU_DEP_2) | instskip(NEXT) | instid1(VALU_DEP_2)
	v_xor_b32_e32 v9, v9, v10
	v_sub_co_u32 v8, vcc_lo, v3, v8
	s_delay_alu instid0(VALU_DEP_2)
	v_sub_co_ci_u32_e32 v9, vcc_lo, v9, v10, vcc_lo
.LBB7_5:                                ;   in Loop: Header=BB7_3 Depth=1
	s_and_not1_saveexec_b32 s0, s1
	s_cbranch_execz .LBB7_7
; %bb.6:                                ;   in Loop: Header=BB7_3 Depth=1
	s_sub_i32 s1, 0, s27
	s_delay_alu instid0(SALU_CYCLE_1) | instskip(NEXT) | instid1(VALU_DEP_1)
	v_mul_lo_u32 v3, s1, v14
	v_mul_hi_u32 v3, v14, v3
	s_delay_alu instid0(VALU_DEP_1) | instskip(NEXT) | instid1(VALU_DEP_1)
	v_add_nc_u32_e32 v3, v14, v3
	v_mul_hi_u32 v3, v4, v3
	s_delay_alu instid0(VALU_DEP_1) | instskip(SKIP_1) | instid1(VALU_DEP_2)
	v_mul_lo_u32 v8, v3, s27
	v_add_nc_u32_e32 v9, 1, v3
	v_sub_nc_u32_e32 v8, v4, v8
	s_delay_alu instid0(VALU_DEP_1) | instskip(SKIP_1) | instid1(VALU_DEP_2)
	v_subrev_nc_u32_e32 v10, s27, v8
	v_cmp_le_u32_e32 vcc_lo, s27, v8
	v_dual_cndmask_b32 v8, v8, v10 :: v_dual_cndmask_b32 v3, v3, v9
	s_delay_alu instid0(VALU_DEP_1) | instskip(NEXT) | instid1(VALU_DEP_2)
	v_cmp_le_u32_e32 vcc_lo, s27, v8
	v_add_nc_u32_e32 v9, 1, v3
	s_delay_alu instid0(VALU_DEP_1)
	v_dual_cndmask_b32 v8, v3, v9 :: v_dual_mov_b32 v9, v2
.LBB7_7:                                ;   in Loop: Header=BB7_3 Depth=1
	s_or_b32 exec_lo, exec_lo, s0
	s_delay_alu instid0(VALU_DEP_1) | instskip(SKIP_1) | instid1(VALU_DEP_1)
	v_or_b32_e32 v3, s28, v9
                                        ; implicit-def: $vgpr10_vgpr11
	s_mov_b32 s0, exec_lo
	v_cmpx_ne_u64_e32 0, v[2:3]
	s_xor_b32 s1, exec_lo, s0
	s_cbranch_execz .LBB7_9
; %bb.8:                                ;   in Loop: Header=BB7_3 Depth=1
	s_add_u32 s4, s29, s28
	s_mov_b32 s2, s28
	s_mov_b32 s3, s28
	s_addc_u32 s5, s28, s28
	s_delay_alu instid0(SALU_CYCLE_1) | instskip(NEXT) | instid1(SALU_CYCLE_1)
	s_xor_b64 s[4:5], s[4:5], s[2:3]
	v_cvt_f32_u32_e32 v3, s4
	v_cvt_f32_u32_e32 v10, s5
	s_sub_u32 s0, 0, s4
	s_subb_u32 s50, 0, s5
	s_delay_alu instid0(VALU_DEP_1) | instskip(NEXT) | instid1(VALU_DEP_1)
	v_fmac_f32_e32 v3, 0x4f800000, v10
	v_rcp_f32_e32 v3, v3
	s_waitcnt_depctr 0xfff
	v_mul_f32_e32 v3, 0x5f7ffffc, v3
	s_delay_alu instid0(VALU_DEP_1) | instskip(NEXT) | instid1(VALU_DEP_1)
	v_mul_f32_e32 v10, 0x2f800000, v3
	v_trunc_f32_e32 v10, v10
	s_delay_alu instid0(VALU_DEP_1) | instskip(SKIP_1) | instid1(VALU_DEP_2)
	v_fmac_f32_e32 v3, 0xcf800000, v10
	v_cvt_u32_f32_e32 v10, v10
	v_cvt_u32_f32_e32 v3, v3
	s_delay_alu instid0(VALU_DEP_2) | instskip(NEXT) | instid1(VALU_DEP_2)
	v_mul_lo_u32 v11, s0, v10
	v_mul_hi_u32 v12, s0, v3
	v_mul_lo_u32 v13, s50, v3
	s_delay_alu instid0(VALU_DEP_2) | instskip(SKIP_1) | instid1(VALU_DEP_2)
	v_add_nc_u32_e32 v11, v12, v11
	v_mul_lo_u32 v12, s0, v3
	v_add_nc_u32_e32 v11, v11, v13
	s_delay_alu instid0(VALU_DEP_2) | instskip(NEXT) | instid1(VALU_DEP_2)
	v_mul_hi_u32 v13, v3, v12
	v_mul_lo_u32 v15, v3, v11
	v_mul_hi_u32 v16, v3, v11
	v_mul_hi_u32 v17, v10, v12
	v_mul_lo_u32 v12, v10, v12
	v_mul_hi_u32 v18, v10, v11
	v_mul_lo_u32 v11, v10, v11
	v_add_co_u32 v13, vcc_lo, v13, v15
	v_add_co_ci_u32_e32 v15, vcc_lo, 0, v16, vcc_lo
	s_delay_alu instid0(VALU_DEP_2) | instskip(NEXT) | instid1(VALU_DEP_2)
	v_add_co_u32 v12, vcc_lo, v13, v12
	v_add_co_ci_u32_e32 v12, vcc_lo, v15, v17, vcc_lo
	v_add_co_ci_u32_e32 v13, vcc_lo, 0, v18, vcc_lo
	v_ashrrev_i32_e32 v17, 31, v9
	s_delay_alu instid0(VALU_DEP_3) | instskip(NEXT) | instid1(VALU_DEP_3)
	v_add_co_u32 v11, vcc_lo, v12, v11
	v_add_co_ci_u32_e32 v12, vcc_lo, 0, v13, vcc_lo
	s_delay_alu instid0(VALU_DEP_2) | instskip(NEXT) | instid1(VALU_DEP_2)
	v_add_co_u32 v3, vcc_lo, v3, v11
	v_add_co_ci_u32_e32 v10, vcc_lo, v10, v12, vcc_lo
	s_delay_alu instid0(VALU_DEP_2) | instskip(SKIP_1) | instid1(VALU_DEP_3)
	v_mul_hi_u32 v11, s0, v3
	v_mul_lo_u32 v13, s50, v3
	v_mul_lo_u32 v12, s0, v10
	s_delay_alu instid0(VALU_DEP_1) | instskip(SKIP_1) | instid1(VALU_DEP_2)
	v_add_nc_u32_e32 v11, v11, v12
	v_mul_lo_u32 v12, s0, v3
	v_add_nc_u32_e32 v11, v11, v13
	s_delay_alu instid0(VALU_DEP_2) | instskip(NEXT) | instid1(VALU_DEP_2)
	v_mul_hi_u32 v13, v3, v12
	v_mul_lo_u32 v15, v3, v11
	v_mul_hi_u32 v16, v3, v11
	v_mul_hi_u32 v18, v10, v12
	v_mul_lo_u32 v12, v10, v12
	v_mul_hi_u32 v19, v10, v11
	v_mul_lo_u32 v11, v10, v11
	v_add_co_u32 v13, vcc_lo, v13, v15
	v_add_co_ci_u32_e32 v15, vcc_lo, 0, v16, vcc_lo
	s_delay_alu instid0(VALU_DEP_2) | instskip(NEXT) | instid1(VALU_DEP_2)
	v_add_co_u32 v12, vcc_lo, v13, v12
	v_add_co_ci_u32_e32 v12, vcc_lo, v15, v18, vcc_lo
	v_add_co_ci_u32_e32 v13, vcc_lo, 0, v19, vcc_lo
	v_add_co_u32 v15, vcc_lo, v8, v17
	v_add_co_ci_u32_e32 v16, vcc_lo, v9, v17, vcc_lo
	s_delay_alu instid0(VALU_DEP_4) | instskip(NEXT) | instid1(VALU_DEP_4)
	v_add_co_u32 v11, vcc_lo, v12, v11
	v_add_co_ci_u32_e32 v12, vcc_lo, 0, v13, vcc_lo
	s_delay_alu instid0(VALU_DEP_4) | instskip(NEXT) | instid1(VALU_DEP_3)
	v_xor_b32_e32 v18, v15, v17
	v_add_co_u32 v3, vcc_lo, v3, v11
	s_delay_alu instid0(VALU_DEP_3) | instskip(SKIP_1) | instid1(VALU_DEP_3)
	v_add_co_ci_u32_e32 v19, vcc_lo, v10, v12, vcc_lo
	v_xor_b32_e32 v20, v16, v17
	v_mul_hi_u32 v21, v18, v3
	s_delay_alu instid0(VALU_DEP_3) | instskip(NEXT) | instid1(VALU_DEP_3)
	v_mad_u64_u32 v[10:11], null, v18, v19, 0
	v_mad_u64_u32 v[12:13], null, v20, v3, 0
	;; [unrolled: 1-line block ×3, first 2 shown]
	s_delay_alu instid0(VALU_DEP_3) | instskip(NEXT) | instid1(VALU_DEP_4)
	v_add_co_u32 v3, vcc_lo, v21, v10
	v_add_co_ci_u32_e32 v10, vcc_lo, 0, v11, vcc_lo
	s_delay_alu instid0(VALU_DEP_2) | instskip(NEXT) | instid1(VALU_DEP_2)
	v_add_co_u32 v3, vcc_lo, v3, v12
	v_add_co_ci_u32_e32 v3, vcc_lo, v10, v13, vcc_lo
	v_add_co_ci_u32_e32 v10, vcc_lo, 0, v16, vcc_lo
	s_delay_alu instid0(VALU_DEP_2) | instskip(NEXT) | instid1(VALU_DEP_2)
	v_add_co_u32 v3, vcc_lo, v3, v15
	v_add_co_ci_u32_e32 v12, vcc_lo, 0, v10, vcc_lo
	s_delay_alu instid0(VALU_DEP_2) | instskip(SKIP_1) | instid1(VALU_DEP_3)
	v_mul_lo_u32 v13, s5, v3
	v_mad_u64_u32 v[10:11], null, s4, v3, 0
	v_mul_lo_u32 v15, s4, v12
	s_delay_alu instid0(VALU_DEP_2) | instskip(NEXT) | instid1(VALU_DEP_2)
	v_sub_co_u32 v10, vcc_lo, v18, v10
	v_add3_u32 v11, v11, v15, v13
	s_delay_alu instid0(VALU_DEP_1) | instskip(NEXT) | instid1(VALU_DEP_1)
	v_sub_nc_u32_e32 v13, v20, v11
	v_subrev_co_ci_u32_e64 v13, s0, s5, v13, vcc_lo
	v_add_co_u32 v15, s0, v3, 2
	s_delay_alu instid0(VALU_DEP_1) | instskip(SKIP_3) | instid1(VALU_DEP_3)
	v_add_co_ci_u32_e64 v16, s0, 0, v12, s0
	v_sub_co_u32 v18, s0, v10, s4
	v_sub_co_ci_u32_e32 v11, vcc_lo, v20, v11, vcc_lo
	v_subrev_co_ci_u32_e64 v13, s0, 0, v13, s0
	v_cmp_le_u32_e32 vcc_lo, s4, v18
	s_delay_alu instid0(VALU_DEP_3) | instskip(SKIP_1) | instid1(VALU_DEP_4)
	v_cmp_eq_u32_e64 s0, s5, v11
	v_cndmask_b32_e64 v18, 0, -1, vcc_lo
	v_cmp_le_u32_e32 vcc_lo, s5, v13
	v_cndmask_b32_e64 v19, 0, -1, vcc_lo
	v_cmp_le_u32_e32 vcc_lo, s4, v10
	;; [unrolled: 2-line block ×3, first 2 shown]
	v_cndmask_b32_e64 v20, 0, -1, vcc_lo
	v_cmp_eq_u32_e32 vcc_lo, s5, v13
	s_delay_alu instid0(VALU_DEP_2) | instskip(SKIP_3) | instid1(VALU_DEP_3)
	v_cndmask_b32_e64 v10, v20, v10, s0
	v_cndmask_b32_e32 v13, v19, v18, vcc_lo
	v_add_co_u32 v18, vcc_lo, v3, 1
	v_add_co_ci_u32_e32 v19, vcc_lo, 0, v12, vcc_lo
	v_cmp_ne_u32_e32 vcc_lo, 0, v13
	s_delay_alu instid0(VALU_DEP_2) | instskip(NEXT) | instid1(VALU_DEP_4)
	v_cndmask_b32_e32 v11, v19, v16, vcc_lo
	v_cndmask_b32_e32 v13, v18, v15, vcc_lo
	v_cmp_ne_u32_e32 vcc_lo, 0, v10
	v_xor_b32_e32 v10, s2, v17
	s_delay_alu instid0(VALU_DEP_3) | instskip(SKIP_2) | instid1(VALU_DEP_3)
	v_cndmask_b32_e32 v3, v3, v13, vcc_lo
	v_cndmask_b32_e32 v11, v12, v11, vcc_lo
	v_xor_b32_e32 v12, s3, v17
	v_xor_b32_e32 v3, v3, v10
	s_delay_alu instid0(VALU_DEP_2) | instskip(NEXT) | instid1(VALU_DEP_2)
	v_xor_b32_e32 v11, v11, v12
	v_sub_co_u32 v10, vcc_lo, v3, v10
	s_delay_alu instid0(VALU_DEP_2)
	v_sub_co_ci_u32_e32 v11, vcc_lo, v11, v12, vcc_lo
.LBB7_9:                                ;   in Loop: Header=BB7_3 Depth=1
	s_and_not1_saveexec_b32 s0, s1
	s_cbranch_execz .LBB7_11
; %bb.10:                               ;   in Loop: Header=BB7_3 Depth=1
	v_cvt_f32_u32_e32 v3, s29
	s_sub_i32 s1, 0, s29
	s_delay_alu instid0(VALU_DEP_1) | instskip(SKIP_2) | instid1(VALU_DEP_1)
	v_rcp_iflag_f32_e32 v3, v3
	s_waitcnt_depctr 0xfff
	v_mul_f32_e32 v3, 0x4f7ffffe, v3
	v_cvt_u32_f32_e32 v3, v3
	s_delay_alu instid0(VALU_DEP_1) | instskip(NEXT) | instid1(VALU_DEP_1)
	v_mul_lo_u32 v10, s1, v3
	v_mul_hi_u32 v10, v3, v10
	s_delay_alu instid0(VALU_DEP_1) | instskip(NEXT) | instid1(VALU_DEP_1)
	v_add_nc_u32_e32 v3, v3, v10
	v_mul_hi_u32 v3, v8, v3
	s_delay_alu instid0(VALU_DEP_1) | instskip(SKIP_1) | instid1(VALU_DEP_2)
	v_mul_lo_u32 v10, v3, s29
	v_add_nc_u32_e32 v11, 1, v3
	v_sub_nc_u32_e32 v10, v8, v10
	s_delay_alu instid0(VALU_DEP_1) | instskip(SKIP_1) | instid1(VALU_DEP_2)
	v_subrev_nc_u32_e32 v12, s29, v10
	v_cmp_le_u32_e32 vcc_lo, s29, v10
	v_dual_cndmask_b32 v10, v10, v12 :: v_dual_cndmask_b32 v3, v3, v11
	s_delay_alu instid0(VALU_DEP_1) | instskip(NEXT) | instid1(VALU_DEP_2)
	v_cmp_le_u32_e32 vcc_lo, s29, v10
	v_add_nc_u32_e32 v11, 1, v3
	s_delay_alu instid0(VALU_DEP_1)
	v_dual_cndmask_b32 v10, v3, v11 :: v_dual_mov_b32 v11, v2
.LBB7_11:                               ;   in Loop: Header=BB7_3 Depth=1
	s_or_b32 exec_lo, exec_lo, s0
	s_delay_alu instid0(VALU_DEP_1) | instskip(SKIP_1) | instid1(VALU_DEP_1)
	v_or_b32_e32 v3, s30, v11
                                        ; implicit-def: $vgpr12_vgpr13
	s_mov_b32 s0, exec_lo
	v_cmpx_ne_u64_e32 0, v[2:3]
	s_xor_b32 s1, exec_lo, s0
	s_cbranch_execz .LBB7_13
; %bb.12:                               ;   in Loop: Header=BB7_3 Depth=1
	s_add_u32 s4, s19, s30
	s_mov_b32 s2, s30
	s_mov_b32 s3, s30
	s_addc_u32 s5, s30, s30
	s_delay_alu instid0(SALU_CYCLE_1) | instskip(NEXT) | instid1(SALU_CYCLE_1)
	s_xor_b64 s[4:5], s[4:5], s[2:3]
	v_cvt_f32_u32_e32 v3, s4
	v_cvt_f32_u32_e32 v12, s5
	s_sub_u32 s0, 0, s4
	s_subb_u32 s50, 0, s5
	s_delay_alu instid0(VALU_DEP_1) | instskip(NEXT) | instid1(VALU_DEP_1)
	v_fmac_f32_e32 v3, 0x4f800000, v12
	v_rcp_f32_e32 v3, v3
	s_waitcnt_depctr 0xfff
	v_mul_f32_e32 v3, 0x5f7ffffc, v3
	s_delay_alu instid0(VALU_DEP_1) | instskip(NEXT) | instid1(VALU_DEP_1)
	v_mul_f32_e32 v12, 0x2f800000, v3
	v_trunc_f32_e32 v12, v12
	s_delay_alu instid0(VALU_DEP_1) | instskip(SKIP_1) | instid1(VALU_DEP_2)
	v_fmac_f32_e32 v3, 0xcf800000, v12
	v_cvt_u32_f32_e32 v12, v12
	v_cvt_u32_f32_e32 v3, v3
	s_delay_alu instid0(VALU_DEP_2) | instskip(NEXT) | instid1(VALU_DEP_2)
	v_mul_lo_u32 v13, s0, v12
	v_mul_hi_u32 v15, s0, v3
	v_mul_lo_u32 v16, s50, v3
	s_delay_alu instid0(VALU_DEP_2) | instskip(SKIP_1) | instid1(VALU_DEP_2)
	v_add_nc_u32_e32 v13, v15, v13
	v_mul_lo_u32 v15, s0, v3
	v_add_nc_u32_e32 v13, v13, v16
	s_delay_alu instid0(VALU_DEP_2) | instskip(NEXT) | instid1(VALU_DEP_2)
	v_mul_hi_u32 v16, v3, v15
	v_mul_lo_u32 v17, v3, v13
	v_mul_hi_u32 v18, v3, v13
	v_mul_hi_u32 v19, v12, v15
	v_mul_lo_u32 v15, v12, v15
	v_mul_hi_u32 v20, v12, v13
	v_mul_lo_u32 v13, v12, v13
	v_add_co_u32 v16, vcc_lo, v16, v17
	v_add_co_ci_u32_e32 v17, vcc_lo, 0, v18, vcc_lo
	s_delay_alu instid0(VALU_DEP_2) | instskip(NEXT) | instid1(VALU_DEP_2)
	v_add_co_u32 v15, vcc_lo, v16, v15
	v_add_co_ci_u32_e32 v15, vcc_lo, v17, v19, vcc_lo
	v_add_co_ci_u32_e32 v16, vcc_lo, 0, v20, vcc_lo
	v_ashrrev_i32_e32 v19, 31, v11
	s_delay_alu instid0(VALU_DEP_3) | instskip(NEXT) | instid1(VALU_DEP_3)
	v_add_co_u32 v13, vcc_lo, v15, v13
	v_add_co_ci_u32_e32 v15, vcc_lo, 0, v16, vcc_lo
	s_delay_alu instid0(VALU_DEP_2) | instskip(NEXT) | instid1(VALU_DEP_2)
	v_add_co_u32 v3, vcc_lo, v3, v13
	v_add_co_ci_u32_e32 v12, vcc_lo, v12, v15, vcc_lo
	s_delay_alu instid0(VALU_DEP_2) | instskip(SKIP_1) | instid1(VALU_DEP_3)
	v_mul_hi_u32 v13, s0, v3
	v_mul_lo_u32 v16, s50, v3
	v_mul_lo_u32 v15, s0, v12
	s_delay_alu instid0(VALU_DEP_1) | instskip(SKIP_1) | instid1(VALU_DEP_2)
	v_add_nc_u32_e32 v13, v13, v15
	v_mul_lo_u32 v15, s0, v3
	v_add_nc_u32_e32 v13, v13, v16
	s_delay_alu instid0(VALU_DEP_2) | instskip(NEXT) | instid1(VALU_DEP_2)
	v_mul_hi_u32 v16, v3, v15
	v_mul_lo_u32 v17, v3, v13
	v_mul_hi_u32 v18, v3, v13
	v_mul_hi_u32 v20, v12, v15
	v_mul_lo_u32 v15, v12, v15
	v_mul_hi_u32 v21, v12, v13
	v_mul_lo_u32 v13, v12, v13
	v_add_co_u32 v16, vcc_lo, v16, v17
	v_add_co_ci_u32_e32 v17, vcc_lo, 0, v18, vcc_lo
	s_delay_alu instid0(VALU_DEP_2) | instskip(NEXT) | instid1(VALU_DEP_2)
	v_add_co_u32 v15, vcc_lo, v16, v15
	v_add_co_ci_u32_e32 v15, vcc_lo, v17, v20, vcc_lo
	v_add_co_ci_u32_e32 v16, vcc_lo, 0, v21, vcc_lo
	v_add_co_u32 v17, vcc_lo, v10, v19
	v_add_co_ci_u32_e32 v18, vcc_lo, v11, v19, vcc_lo
	s_delay_alu instid0(VALU_DEP_4) | instskip(NEXT) | instid1(VALU_DEP_4)
	v_add_co_u32 v13, vcc_lo, v15, v13
	v_add_co_ci_u32_e32 v15, vcc_lo, 0, v16, vcc_lo
	s_delay_alu instid0(VALU_DEP_4) | instskip(NEXT) | instid1(VALU_DEP_3)
	v_xor_b32_e32 v20, v17, v19
	v_add_co_u32 v3, vcc_lo, v3, v13
	s_delay_alu instid0(VALU_DEP_3) | instskip(SKIP_1) | instid1(VALU_DEP_3)
	v_add_co_ci_u32_e32 v21, vcc_lo, v12, v15, vcc_lo
	v_xor_b32_e32 v22, v18, v19
	v_mul_hi_u32 v23, v20, v3
	s_delay_alu instid0(VALU_DEP_3) | instskip(NEXT) | instid1(VALU_DEP_3)
	v_mad_u64_u32 v[12:13], null, v20, v21, 0
	v_mad_u64_u32 v[15:16], null, v22, v3, 0
	;; [unrolled: 1-line block ×3, first 2 shown]
	s_delay_alu instid0(VALU_DEP_3) | instskip(NEXT) | instid1(VALU_DEP_4)
	v_add_co_u32 v3, vcc_lo, v23, v12
	v_add_co_ci_u32_e32 v12, vcc_lo, 0, v13, vcc_lo
	s_delay_alu instid0(VALU_DEP_2) | instskip(NEXT) | instid1(VALU_DEP_2)
	v_add_co_u32 v3, vcc_lo, v3, v15
	v_add_co_ci_u32_e32 v3, vcc_lo, v12, v16, vcc_lo
	v_add_co_ci_u32_e32 v12, vcc_lo, 0, v18, vcc_lo
	s_delay_alu instid0(VALU_DEP_2) | instskip(NEXT) | instid1(VALU_DEP_2)
	v_add_co_u32 v3, vcc_lo, v3, v17
	v_add_co_ci_u32_e32 v15, vcc_lo, 0, v12, vcc_lo
	s_delay_alu instid0(VALU_DEP_2) | instskip(SKIP_1) | instid1(VALU_DEP_3)
	v_mul_lo_u32 v16, s5, v3
	v_mad_u64_u32 v[12:13], null, s4, v3, 0
	v_mul_lo_u32 v17, s4, v15
	s_delay_alu instid0(VALU_DEP_2) | instskip(NEXT) | instid1(VALU_DEP_2)
	v_sub_co_u32 v12, vcc_lo, v20, v12
	v_add3_u32 v13, v13, v17, v16
	s_delay_alu instid0(VALU_DEP_1) | instskip(NEXT) | instid1(VALU_DEP_1)
	v_sub_nc_u32_e32 v16, v22, v13
	v_subrev_co_ci_u32_e64 v16, s0, s5, v16, vcc_lo
	v_add_co_u32 v17, s0, v3, 2
	s_delay_alu instid0(VALU_DEP_1) | instskip(SKIP_3) | instid1(VALU_DEP_3)
	v_add_co_ci_u32_e64 v18, s0, 0, v15, s0
	v_sub_co_u32 v20, s0, v12, s4
	v_sub_co_ci_u32_e32 v13, vcc_lo, v22, v13, vcc_lo
	v_subrev_co_ci_u32_e64 v16, s0, 0, v16, s0
	v_cmp_le_u32_e32 vcc_lo, s4, v20
	s_delay_alu instid0(VALU_DEP_3) | instskip(SKIP_1) | instid1(VALU_DEP_4)
	v_cmp_eq_u32_e64 s0, s5, v13
	v_cndmask_b32_e64 v20, 0, -1, vcc_lo
	v_cmp_le_u32_e32 vcc_lo, s5, v16
	v_cndmask_b32_e64 v21, 0, -1, vcc_lo
	v_cmp_le_u32_e32 vcc_lo, s4, v12
	;; [unrolled: 2-line block ×3, first 2 shown]
	v_cndmask_b32_e64 v22, 0, -1, vcc_lo
	v_cmp_eq_u32_e32 vcc_lo, s5, v16
	s_delay_alu instid0(VALU_DEP_2) | instskip(SKIP_3) | instid1(VALU_DEP_3)
	v_cndmask_b32_e64 v12, v22, v12, s0
	v_cndmask_b32_e32 v16, v21, v20, vcc_lo
	v_add_co_u32 v20, vcc_lo, v3, 1
	v_add_co_ci_u32_e32 v21, vcc_lo, 0, v15, vcc_lo
	v_cmp_ne_u32_e32 vcc_lo, 0, v16
	s_delay_alu instid0(VALU_DEP_2) | instskip(SKIP_2) | instid1(VALU_DEP_3)
	v_dual_cndmask_b32 v13, v21, v18 :: v_dual_cndmask_b32 v16, v20, v17
	v_cmp_ne_u32_e32 vcc_lo, 0, v12
	v_xor_b32_e32 v12, s2, v19
	v_cndmask_b32_e32 v3, v3, v16, vcc_lo
	s_delay_alu instid0(VALU_DEP_4) | instskip(SKIP_1) | instid1(VALU_DEP_3)
	v_cndmask_b32_e32 v13, v15, v13, vcc_lo
	v_xor_b32_e32 v15, s3, v19
	v_xor_b32_e32 v3, v3, v12
	s_delay_alu instid0(VALU_DEP_2) | instskip(NEXT) | instid1(VALU_DEP_2)
	v_xor_b32_e32 v13, v13, v15
	v_sub_co_u32 v12, vcc_lo, v3, v12
	s_delay_alu instid0(VALU_DEP_2)
	v_sub_co_ci_u32_e32 v13, vcc_lo, v13, v15, vcc_lo
.LBB7_13:                               ;   in Loop: Header=BB7_3 Depth=1
	s_and_not1_saveexec_b32 s0, s1
	s_cbranch_execz .LBB7_15
; %bb.14:                               ;   in Loop: Header=BB7_3 Depth=1
	v_cvt_f32_u32_e32 v3, s19
	s_sub_i32 s1, 0, s19
	s_delay_alu instid0(VALU_DEP_1) | instskip(SKIP_2) | instid1(VALU_DEP_1)
	v_rcp_iflag_f32_e32 v3, v3
	s_waitcnt_depctr 0xfff
	v_mul_f32_e32 v3, 0x4f7ffffe, v3
	v_cvt_u32_f32_e32 v3, v3
	s_delay_alu instid0(VALU_DEP_1) | instskip(NEXT) | instid1(VALU_DEP_1)
	v_mul_lo_u32 v12, s1, v3
	v_mul_hi_u32 v12, v3, v12
	s_delay_alu instid0(VALU_DEP_1) | instskip(NEXT) | instid1(VALU_DEP_1)
	v_add_nc_u32_e32 v3, v3, v12
	v_mul_hi_u32 v3, v10, v3
	s_delay_alu instid0(VALU_DEP_1) | instskip(SKIP_1) | instid1(VALU_DEP_2)
	v_mul_lo_u32 v12, v3, s19
	v_add_nc_u32_e32 v13, 1, v3
	v_sub_nc_u32_e32 v12, v10, v12
	s_delay_alu instid0(VALU_DEP_1) | instskip(SKIP_1) | instid1(VALU_DEP_2)
	v_subrev_nc_u32_e32 v15, s19, v12
	v_cmp_le_u32_e32 vcc_lo, s19, v12
	v_dual_cndmask_b32 v12, v12, v15 :: v_dual_cndmask_b32 v3, v3, v13
	s_delay_alu instid0(VALU_DEP_1) | instskip(NEXT) | instid1(VALU_DEP_2)
	v_cmp_le_u32_e32 vcc_lo, s19, v12
	v_add_nc_u32_e32 v13, 1, v3
	s_delay_alu instid0(VALU_DEP_1)
	v_dual_cndmask_b32 v12, v3, v13 :: v_dual_mov_b32 v13, v2
.LBB7_15:                               ;   in Loop: Header=BB7_3 Depth=1
	s_or_b32 exec_lo, exec_lo, s0
	v_mul_lo_u32 v3, v11, s29
	v_mul_lo_u32 v19, v10, s28
	v_mad_u64_u32 v[15:16], null, v10, s29, 0
	v_mul_lo_u32 v20, v13, s19
	v_mul_lo_u32 v21, v12, s30
	v_mad_u64_u32 v[17:18], null, v12, s19, 0
	v_mul_lo_u32 v23, v8, s26
	v_add3_u32 v3, v16, v19, v3
	v_sub_co_u32 v15, vcc_lo, v8, v15
	s_delay_alu instid0(VALU_DEP_4) | instskip(NEXT) | instid1(VALU_DEP_3)
	v_add3_u32 v22, v18, v21, v20
	v_sub_co_ci_u32_e32 v16, vcc_lo, v9, v3, vcc_lo
	v_sub_co_u32 v10, vcc_lo, v10, v17
	s_delay_alu instid0(VALU_DEP_3) | instskip(SKIP_2) | instid1(VALU_DEP_3)
	v_sub_co_ci_u32_e32 v11, vcc_lo, v11, v22, vcc_lo
	v_mul_lo_u32 v3, v9, s27
	v_mad_u64_u32 v[18:19], null, v8, s27, 0
	v_mul_lo_u32 v24, v11, s13
	v_mul_lo_u32 v25, v10, s31
	v_mad_u64_u32 v[8:9], null, v10, s13, 0
	v_mul_lo_u32 v26, v16, s36
	v_mul_lo_u32 v27, v15, s35
	v_mad_u64_u32 v[20:21], null, v15, s36, 0
	v_add3_u32 v3, v19, v23, v3
	v_sub_co_u32 v18, vcc_lo, v4, v18
	s_delay_alu instid0(VALU_DEP_2)
	v_sub_co_ci_u32_e32 v19, vcc_lo, v5, v3, vcc_lo
	v_add3_u32 v3, v9, v25, v24
	v_add3_u32 v23, v21, v27, v26
	v_mul_lo_u32 v24, v22, s43
	v_mad_u64_u32 v[21:22], null, v17, s43, v[10:11]
	v_mul_lo_u32 v17, v17, s42
	v_sub_co_u32 v8, vcc_lo, v8, s34
	v_subrev_co_ci_u32_e32 v9, vcc_lo, s33, v3, vcc_lo
	v_sub_co_u32 v10, vcc_lo, v20, s38
	v_subrev_co_ci_u32_e32 v11, vcc_lo, s37, v23, vcc_lo
	v_add3_u32 v17, v24, v22, v17
	s_delay_alu instid0(VALU_DEP_4)
	v_mad_u64_u32 v[22:23], null, v12, s10, v[8:9]
	v_mul_lo_u32 v20, v12, s11
	v_mul_lo_u32 v26, v13, s10
	;; [unrolled: 1-line block ×4, first 2 shown]
	v_mad_u64_u32 v[12:13], null, v18, s40, 0
	v_mul_lo_u32 v17, v17, s29
	v_mad_u64_u32 v[24:25], null, v21, s29, v[15:16]
	v_add3_u32 v20, v26, v23, v20
	v_mul_lo_u32 v21, v21, s28
	v_mad_u64_u32 v[15:16], null, v22, s14, v[10:11]
	v_mul_lo_u32 v22, v22, s15
	s_delay_alu instid0(VALU_DEP_4) | instskip(SKIP_4) | instid1(VALU_DEP_4)
	v_mul_lo_u32 v20, v20, s14
	v_add3_u32 v3, v13, v27, v3
	v_sub_co_u32 v12, vcc_lo, v12, s12
	v_add3_u32 v17, v17, v25, v21
	v_mul_lo_u32 v21, v24, s26
	v_subrev_co_ci_u32_e32 v13, vcc_lo, s41, v3, vcc_lo
	v_add3_u32 v20, v20, v16, v22
	s_delay_alu instid0(VALU_DEP_4) | instskip(SKIP_2) | instid1(VALU_DEP_4)
	v_mul_lo_u32 v3, v17, s27
	v_mad_u64_u32 v[16:17], null, v24, s27, v[18:19]
	v_mul_lo_u32 v22, v15, s25
	v_mul_lo_u32 v20, v20, s24
	v_mad_u64_u32 v[18:19], null, v15, s24, v[12:13]
	s_delay_alu instid0(VALU_DEP_4) | instskip(NEXT) | instid1(VALU_DEP_2)
	v_add3_u32 v17, v3, v17, v21
	v_add3_u32 v19, v20, v19, v22
	s_delay_alu instid0(VALU_DEP_2) | instskip(NEXT) | instid1(VALU_DEP_2)
	v_lshlrev_b64 v[15:16], 1, v[16:17]
	v_lshlrev_b64 v[17:18], 1, v[18:19]
	s_delay_alu instid0(VALU_DEP_2) | instskip(NEXT) | instid1(VALU_DEP_3)
	v_add_co_u32 v6, vcc_lo, v6, v15
	v_add_co_ci_u32_e32 v7, vcc_lo, v7, v16, vcc_lo
	s_delay_alu instid0(VALU_DEP_3) | instskip(NEXT) | instid1(VALU_DEP_4)
	v_add_co_u32 v0, vcc_lo, v0, v17
	v_add_co_ci_u32_e32 v1, vcc_lo, v1, v18, vcc_lo
	s_and_not1_b32 vcc_lo, exec_lo, s44
	s_cbranch_vccnz .LBB7_2
; %bb.16:                               ;   in Loop: Header=BB7_3 Depth=1
	s_mov_b32 s3, 0
	s_mov_b32 s4, 0
	s_branch .LBB7_18
.LBB7_17:                               ;   in Loop: Header=BB7_18 Depth=2
	s_add_i32 s4, s4, 1
	s_add_i32 s3, s3, s49
	s_cmp_eq_u32 s4, s7
	s_cbranch_scc1 .LBB7_2
.LBB7_18:                               ;   Parent Loop BB7_3 Depth=1
                                        ; =>  This Loop Header: Depth=2
                                        ;       Child Loop BB7_21 Depth 3
                                        ;         Child Loop BB7_24 Depth 4
	s_and_not1_b32 vcc_lo, exec_lo, s45
	s_cbranch_vccnz .LBB7_17
; %bb.19:                               ;   in Loop: Header=BB7_18 Depth=2
	s_mul_i32 s0, s4, s16
	s_mov_b32 s5, 0
	s_ashr_i32 s1, s0, 31
	v_add_co_u32 v15, vcc_lo, v8, s0
	v_add_co_ci_u32_e32 v16, vcc_lo, s1, v9, vcc_lo
	s_mov_b32 s50, s3
	s_delay_alu instid0(VALU_DEP_1)
	v_cmp_lt_i64_e64 s0, -1, v[15:16]
	v_cmp_gt_i64_e64 s1, s[10:11], v[15:16]
	s_branch .LBB7_21
.LBB7_20:                               ;   in Loop: Header=BB7_21 Depth=3
	s_set_inst_prefetch_distance 0x2
	s_add_i32 s5, s5, 1
	s_add_i32 s50, s50, s6
	s_cmp_eq_u32 s5, s8
	s_cbranch_scc1 .LBB7_17
.LBB7_21:                               ;   Parent Loop BB7_3 Depth=1
                                        ;     Parent Loop BB7_18 Depth=2
                                        ; =>    This Loop Header: Depth=3
                                        ;         Child Loop BB7_24 Depth 4
	s_and_not1_b32 vcc_lo, exec_lo, s47
	s_cbranch_vccnz .LBB7_20
; %bb.22:                               ;   in Loop: Header=BB7_21 Depth=3
	s_mul_i32 s2, s5, s17
	s_mov_b32 s53, s9
	s_ashr_i32 s51, s2, 31
	v_add_co_u32 v15, vcc_lo, v10, s2
	v_add_co_ci_u32_e32 v16, vcc_lo, s51, v11, vcc_lo
	s_mov_b32 s51, 0
	s_delay_alu instid0(VALU_DEP_1) | instskip(SKIP_1) | instid1(VALU_DEP_2)
	v_cmp_lt_i64_e64 s2, -1, v[15:16]
	v_cmp_gt_i64_e32 vcc_lo, s[14:15], v[15:16]
	s_and_b32 s52, s0, s2
	s_set_inst_prefetch_distance 0x1
	s_branch .LBB7_24
	.p2align	6
.LBB7_23:                               ;   in Loop: Header=BB7_24 Depth=4
	s_or_b32 exec_lo, exec_lo, s54
	s_waitcnt vmcnt(0)
	global_store_b16 v[6:7], v3, off
	v_add_co_u32 v6, s2, v6, s22
	s_delay_alu instid0(VALU_DEP_1)
	v_add_co_ci_u32_e64 v7, s2, s23, v7, s2
	s_add_i32 s53, s53, -1
	s_add_i32 s51, s51, s18
	s_cmp_eq_u32 s53, 0
	s_cbranch_scc1 .LBB7_20
.LBB7_24:                               ;   Parent Loop BB7_3 Depth=1
                                        ;     Parent Loop BB7_18 Depth=2
                                        ;       Parent Loop BB7_21 Depth=3
                                        ; =>      This Inner Loop Header: Depth=4
	s_ashr_i32 s54, s51, 31
	v_add_co_u32 v15, s2, v12, s51
	s_delay_alu instid0(VALU_DEP_1) | instskip(SKIP_1) | instid1(VALU_DEP_2)
	v_add_co_ci_u32_e64 v16, s2, s54, v13, s2
	v_mov_b32_e32 v3, 0
	v_cmp_lt_i64_e64 s2, -1, v[15:16]
	s_delay_alu instid0(VALU_DEP_1) | instskip(SKIP_2) | instid1(SALU_CYCLE_1)
	s_and_b32 s54, s52, s2
	v_cmp_gt_i64_e64 s2, s[24:25], v[15:16]
	s_and_b32 s54, s1, s54
	s_and_b32 s54, s54, vcc_lo
	s_delay_alu instid0(VALU_DEP_1) | instid1(SALU_CYCLE_1)
	s_and_b32 s2, s54, s2
	s_delay_alu instid0(SALU_CYCLE_1)
	s_and_saveexec_b32 s54, s2
	s_cbranch_execz .LBB7_23
; %bb.25:                               ;   in Loop: Header=BB7_24 Depth=4
	s_add_i32 s56, s50, s51
	s_delay_alu instid0(SALU_CYCLE_1) | instskip(NEXT) | instid1(SALU_CYCLE_1)
	s_ashr_i32 s57, s56, 31
	s_lshl_b64 s[56:57], s[56:57], 1
	s_delay_alu instid0(SALU_CYCLE_1) | instskip(NEXT) | instid1(VALU_DEP_1)
	v_add_co_u32 v15, s2, v0, s56
	v_add_co_ci_u32_e64 v16, s2, s57, v1, s2
	global_load_u16 v3, v[15:16], off
	s_branch .LBB7_23
.LBB7_26:
	s_nop 0
	s_sendmsg sendmsg(MSG_DEALLOC_VGPRS)
	s_endpgm
	.section	.rodata,"a",@progbits
	.p2align	6, 0x0
	.amdhsa_kernel _ZN2at6native14vol2col_kernelIN3c108BFloat16EEEvlPKT_iiiiiiiiiiiiiiiiiiPS4_
		.amdhsa_group_segment_fixed_size 0
		.amdhsa_private_segment_fixed_size 0
		.amdhsa_kernarg_size 352
		.amdhsa_user_sgpr_count 15
		.amdhsa_user_sgpr_dispatch_ptr 0
		.amdhsa_user_sgpr_queue_ptr 0
		.amdhsa_user_sgpr_kernarg_segment_ptr 1
		.amdhsa_user_sgpr_dispatch_id 0
		.amdhsa_user_sgpr_private_segment_size 0
		.amdhsa_wavefront_size32 1
		.amdhsa_uses_dynamic_stack 0
		.amdhsa_enable_private_segment 0
		.amdhsa_system_sgpr_workgroup_id_x 1
		.amdhsa_system_sgpr_workgroup_id_y 0
		.amdhsa_system_sgpr_workgroup_id_z 0
		.amdhsa_system_sgpr_workgroup_info 0
		.amdhsa_system_vgpr_workitem_id 0
		.amdhsa_next_free_vgpr 28
		.amdhsa_next_free_sgpr 58
		.amdhsa_reserve_vcc 1
		.amdhsa_float_round_mode_32 0
		.amdhsa_float_round_mode_16_64 0
		.amdhsa_float_denorm_mode_32 3
		.amdhsa_float_denorm_mode_16_64 3
		.amdhsa_dx10_clamp 1
		.amdhsa_ieee_mode 1
		.amdhsa_fp16_overflow 0
		.amdhsa_workgroup_processor_mode 1
		.amdhsa_memory_ordered 1
		.amdhsa_forward_progress 0
		.amdhsa_shared_vgpr_count 0
		.amdhsa_exception_fp_ieee_invalid_op 0
		.amdhsa_exception_fp_denorm_src 0
		.amdhsa_exception_fp_ieee_div_zero 0
		.amdhsa_exception_fp_ieee_overflow 0
		.amdhsa_exception_fp_ieee_underflow 0
		.amdhsa_exception_fp_ieee_inexact 0
		.amdhsa_exception_int_div_zero 0
	.end_amdhsa_kernel
	.section	.text._ZN2at6native14vol2col_kernelIN3c108BFloat16EEEvlPKT_iiiiiiiiiiiiiiiiiiPS4_,"axG",@progbits,_ZN2at6native14vol2col_kernelIN3c108BFloat16EEEvlPKT_iiiiiiiiiiiiiiiiiiPS4_,comdat
.Lfunc_end7:
	.size	_ZN2at6native14vol2col_kernelIN3c108BFloat16EEEvlPKT_iiiiiiiiiiiiiiiiiiPS4_, .Lfunc_end7-_ZN2at6native14vol2col_kernelIN3c108BFloat16EEEvlPKT_iiiiiiiiiiiiiiiiiiPS4_
                                        ; -- End function
	.section	.AMDGPU.csdata,"",@progbits
; Kernel info:
; codeLenInByte = 4240
; NumSgprs: 60
; NumVgprs: 28
; ScratchSize: 0
; MemoryBound: 0
; FloatMode: 240
; IeeeMode: 1
; LDSByteSize: 0 bytes/workgroup (compile time only)
; SGPRBlocks: 7
; VGPRBlocks: 3
; NumSGPRsForWavesPerEU: 60
; NumVGPRsForWavesPerEU: 28
; Occupancy: 16
; WaveLimiterHint : 0
; COMPUTE_PGM_RSRC2:SCRATCH_EN: 0
; COMPUTE_PGM_RSRC2:USER_SGPR: 15
; COMPUTE_PGM_RSRC2:TRAP_HANDLER: 0
; COMPUTE_PGM_RSRC2:TGID_X_EN: 1
; COMPUTE_PGM_RSRC2:TGID_Y_EN: 0
; COMPUTE_PGM_RSRC2:TGID_Z_EN: 0
; COMPUTE_PGM_RSRC2:TIDIG_COMP_CNT: 0
	.text
	.p2alignl 7, 3214868480
	.fill 96, 4, 3214868480
	.type	__hip_cuid_33417f90ab7f33b6,@object ; @__hip_cuid_33417f90ab7f33b6
	.section	.bss,"aw",@nobits
	.globl	__hip_cuid_33417f90ab7f33b6
__hip_cuid_33417f90ab7f33b6:
	.byte	0                               ; 0x0
	.size	__hip_cuid_33417f90ab7f33b6, 1

	.ident	"AMD clang version 19.0.0git (https://github.com/RadeonOpenCompute/llvm-project roc-6.4.0 25133 c7fe45cf4b819c5991fe208aaa96edf142730f1d)"
	.section	".note.GNU-stack","",@progbits
	.addrsig
	.addrsig_sym __hip_cuid_33417f90ab7f33b6
	.amdgpu_metadata
---
amdhsa.kernels:
  - .args:
      - .offset:         0
        .size:           8
        .value_kind:     by_value
      - .address_space:  global
        .offset:         8
        .size:           8
        .value_kind:     global_buffer
      - .offset:         16
        .size:           4
        .value_kind:     by_value
      - .offset:         20
        .size:           4
        .value_kind:     by_value
      - .offset:         24
        .size:           4
        .value_kind:     by_value
      - .offset:         28
        .size:           4
        .value_kind:     by_value
      - .offset:         32
        .size:           4
        .value_kind:     by_value
      - .offset:         36
        .size:           4
        .value_kind:     by_value
      - .offset:         40
        .size:           4
        .value_kind:     by_value
      - .offset:         44
        .size:           4
        .value_kind:     by_value
      - .offset:         48
        .size:           4
        .value_kind:     by_value
      - .offset:         52
        .size:           4
        .value_kind:     by_value
      - .offset:         56
        .size:           4
        .value_kind:     by_value
      - .offset:         60
        .size:           4
        .value_kind:     by_value
      - .offset:         64
        .size:           4
        .value_kind:     by_value
      - .offset:         68
        .size:           4
        .value_kind:     by_value
      - .offset:         72
        .size:           4
        .value_kind:     by_value
      - .offset:         76
        .size:           4
        .value_kind:     by_value
      - .offset:         80
        .size:           4
        .value_kind:     by_value
      - .offset:         84
        .size:           4
        .value_kind:     by_value
      - .offset:         88
        .size:           4
        .value_kind:     by_value
      - .address_space:  global
        .offset:         96
        .size:           8
        .value_kind:     global_buffer
      - .offset:         104
        .size:           4
        .value_kind:     hidden_block_count_x
      - .offset:         108
        .size:           4
        .value_kind:     hidden_block_count_y
      - .offset:         112
        .size:           4
        .value_kind:     hidden_block_count_z
      - .offset:         116
        .size:           2
        .value_kind:     hidden_group_size_x
      - .offset:         118
        .size:           2
        .value_kind:     hidden_group_size_y
      - .offset:         120
        .size:           2
        .value_kind:     hidden_group_size_z
      - .offset:         122
        .size:           2
        .value_kind:     hidden_remainder_x
      - .offset:         124
        .size:           2
        .value_kind:     hidden_remainder_y
      - .offset:         126
        .size:           2
        .value_kind:     hidden_remainder_z
      - .offset:         144
        .size:           8
        .value_kind:     hidden_global_offset_x
      - .offset:         152
        .size:           8
        .value_kind:     hidden_global_offset_y
      - .offset:         160
        .size:           8
        .value_kind:     hidden_global_offset_z
      - .offset:         168
        .size:           2
        .value_kind:     hidden_grid_dims
    .group_segment_fixed_size: 0
    .kernarg_segment_align: 8
    .kernarg_segment_size: 360
    .language:       OpenCL C
    .language_version:
      - 2
      - 0
    .max_flat_workgroup_size: 1024
    .name:           _ZN2at6native13vol2im_kernelIddEEvlPKT_jjjjjjjjjjjjjjjjjjjPS2_
    .private_segment_fixed_size: 0
    .sgpr_count:     49
    .sgpr_spill_count: 0
    .symbol:         _ZN2at6native13vol2im_kernelIddEEvlPKT_jjjjjjjjjjjjjjjjjjjPS2_.kd
    .uniform_work_group_size: 1
    .uses_dynamic_stack: false
    .vgpr_count:     46
    .vgpr_spill_count: 0
    .wavefront_size: 32
    .workgroup_processor_mode: 1
  - .args:
      - .offset:         0
        .size:           8
        .value_kind:     by_value
      - .address_space:  global
        .offset:         8
        .size:           8
        .value_kind:     global_buffer
      - .offset:         16
        .size:           4
        .value_kind:     by_value
      - .offset:         20
        .size:           4
        .value_kind:     by_value
      - .offset:         24
        .size:           4
        .value_kind:     by_value
      - .offset:         28
        .size:           4
        .value_kind:     by_value
      - .offset:         32
        .size:           4
        .value_kind:     by_value
      - .offset:         36
        .size:           4
        .value_kind:     by_value
      - .offset:         40
        .size:           4
        .value_kind:     by_value
      - .offset:         44
        .size:           4
        .value_kind:     by_value
      - .offset:         48
        .size:           4
        .value_kind:     by_value
      - .offset:         52
        .size:           4
        .value_kind:     by_value
      - .offset:         56
        .size:           4
        .value_kind:     by_value
      - .offset:         60
        .size:           4
        .value_kind:     by_value
      - .offset:         64
        .size:           4
        .value_kind:     by_value
      - .offset:         68
        .size:           4
        .value_kind:     by_value
      - .offset:         72
        .size:           4
        .value_kind:     by_value
      - .offset:         76
        .size:           4
        .value_kind:     by_value
      - .offset:         80
        .size:           4
        .value_kind:     by_value
      - .offset:         84
        .size:           4
        .value_kind:     by_value
      - .offset:         88
        .size:           4
        .value_kind:     by_value
      - .address_space:  global
        .offset:         96
        .size:           8
        .value_kind:     global_buffer
      - .offset:         104
        .size:           4
        .value_kind:     hidden_block_count_x
      - .offset:         108
        .size:           4
        .value_kind:     hidden_block_count_y
      - .offset:         112
        .size:           4
        .value_kind:     hidden_block_count_z
      - .offset:         116
        .size:           2
        .value_kind:     hidden_group_size_x
      - .offset:         118
        .size:           2
        .value_kind:     hidden_group_size_y
      - .offset:         120
        .size:           2
        .value_kind:     hidden_group_size_z
      - .offset:         122
        .size:           2
        .value_kind:     hidden_remainder_x
      - .offset:         124
        .size:           2
        .value_kind:     hidden_remainder_y
      - .offset:         126
        .size:           2
        .value_kind:     hidden_remainder_z
      - .offset:         144
        .size:           8
        .value_kind:     hidden_global_offset_x
      - .offset:         152
        .size:           8
        .value_kind:     hidden_global_offset_y
      - .offset:         160
        .size:           8
        .value_kind:     hidden_global_offset_z
      - .offset:         168
        .size:           2
        .value_kind:     hidden_grid_dims
    .group_segment_fixed_size: 0
    .kernarg_segment_align: 8
    .kernarg_segment_size: 360
    .language:       OpenCL C
    .language_version:
      - 2
      - 0
    .max_flat_workgroup_size: 1024
    .name:           _ZN2at6native13vol2im_kernelIffEEvlPKT_jjjjjjjjjjjjjjjjjjjPS2_
    .private_segment_fixed_size: 0
    .sgpr_count:     49
    .sgpr_spill_count: 0
    .symbol:         _ZN2at6native13vol2im_kernelIffEEvlPKT_jjjjjjjjjjjjjjjjjjjPS2_.kd
    .uniform_work_group_size: 1
    .uses_dynamic_stack: false
    .vgpr_count:     45
    .vgpr_spill_count: 0
    .wavefront_size: 32
    .workgroup_processor_mode: 1
  - .args:
      - .offset:         0
        .size:           8
        .value_kind:     by_value
      - .address_space:  global
        .offset:         8
        .size:           8
        .value_kind:     global_buffer
      - .offset:         16
        .size:           4
        .value_kind:     by_value
      - .offset:         20
        .size:           4
        .value_kind:     by_value
      - .offset:         24
        .size:           4
        .value_kind:     by_value
      - .offset:         28
        .size:           4
        .value_kind:     by_value
      - .offset:         32
        .size:           4
        .value_kind:     by_value
      - .offset:         36
        .size:           4
        .value_kind:     by_value
      - .offset:         40
        .size:           4
        .value_kind:     by_value
      - .offset:         44
        .size:           4
        .value_kind:     by_value
      - .offset:         48
        .size:           4
        .value_kind:     by_value
      - .offset:         52
        .size:           4
        .value_kind:     by_value
      - .offset:         56
        .size:           4
        .value_kind:     by_value
      - .offset:         60
        .size:           4
        .value_kind:     by_value
      - .offset:         64
        .size:           4
        .value_kind:     by_value
      - .offset:         68
        .size:           4
        .value_kind:     by_value
      - .offset:         72
        .size:           4
        .value_kind:     by_value
      - .offset:         76
        .size:           4
        .value_kind:     by_value
      - .offset:         80
        .size:           4
        .value_kind:     by_value
      - .offset:         84
        .size:           4
        .value_kind:     by_value
      - .offset:         88
        .size:           4
        .value_kind:     by_value
      - .address_space:  global
        .offset:         96
        .size:           8
        .value_kind:     global_buffer
      - .offset:         104
        .size:           4
        .value_kind:     hidden_block_count_x
      - .offset:         108
        .size:           4
        .value_kind:     hidden_block_count_y
      - .offset:         112
        .size:           4
        .value_kind:     hidden_block_count_z
      - .offset:         116
        .size:           2
        .value_kind:     hidden_group_size_x
      - .offset:         118
        .size:           2
        .value_kind:     hidden_group_size_y
      - .offset:         120
        .size:           2
        .value_kind:     hidden_group_size_z
      - .offset:         122
        .size:           2
        .value_kind:     hidden_remainder_x
      - .offset:         124
        .size:           2
        .value_kind:     hidden_remainder_y
      - .offset:         126
        .size:           2
        .value_kind:     hidden_remainder_z
      - .offset:         144
        .size:           8
        .value_kind:     hidden_global_offset_x
      - .offset:         152
        .size:           8
        .value_kind:     hidden_global_offset_y
      - .offset:         160
        .size:           8
        .value_kind:     hidden_global_offset_z
      - .offset:         168
        .size:           2
        .value_kind:     hidden_grid_dims
    .group_segment_fixed_size: 0
    .kernarg_segment_align: 8
    .kernarg_segment_size: 360
    .language:       OpenCL C
    .language_version:
      - 2
      - 0
    .max_flat_workgroup_size: 1024
    .name:           _ZN2at6native13vol2im_kernelIN3c104HalfEfEEvlPKT_jjjjjjjjjjjjjjjjjjjPS4_
    .private_segment_fixed_size: 0
    .sgpr_count:     49
    .sgpr_spill_count: 0
    .symbol:         _ZN2at6native13vol2im_kernelIN3c104HalfEfEEvlPKT_jjjjjjjjjjjjjjjjjjjPS4_.kd
    .uniform_work_group_size: 1
    .uses_dynamic_stack: false
    .vgpr_count:     45
    .vgpr_spill_count: 0
    .wavefront_size: 32
    .workgroup_processor_mode: 1
  - .args:
      - .offset:         0
        .size:           8
        .value_kind:     by_value
      - .address_space:  global
        .offset:         8
        .size:           8
        .value_kind:     global_buffer
      - .offset:         16
        .size:           4
        .value_kind:     by_value
      - .offset:         20
        .size:           4
        .value_kind:     by_value
      - .offset:         24
        .size:           4
        .value_kind:     by_value
      - .offset:         28
        .size:           4
        .value_kind:     by_value
      - .offset:         32
        .size:           4
        .value_kind:     by_value
      - .offset:         36
        .size:           4
        .value_kind:     by_value
      - .offset:         40
        .size:           4
        .value_kind:     by_value
      - .offset:         44
        .size:           4
        .value_kind:     by_value
      - .offset:         48
        .size:           4
        .value_kind:     by_value
      - .offset:         52
        .size:           4
        .value_kind:     by_value
      - .offset:         56
        .size:           4
        .value_kind:     by_value
      - .offset:         60
        .size:           4
        .value_kind:     by_value
      - .offset:         64
        .size:           4
        .value_kind:     by_value
      - .offset:         68
        .size:           4
        .value_kind:     by_value
      - .offset:         72
        .size:           4
        .value_kind:     by_value
      - .offset:         76
        .size:           4
        .value_kind:     by_value
      - .offset:         80
        .size:           4
        .value_kind:     by_value
      - .offset:         84
        .size:           4
        .value_kind:     by_value
      - .offset:         88
        .size:           4
        .value_kind:     by_value
      - .address_space:  global
        .offset:         96
        .size:           8
        .value_kind:     global_buffer
      - .offset:         104
        .size:           4
        .value_kind:     hidden_block_count_x
      - .offset:         108
        .size:           4
        .value_kind:     hidden_block_count_y
      - .offset:         112
        .size:           4
        .value_kind:     hidden_block_count_z
      - .offset:         116
        .size:           2
        .value_kind:     hidden_group_size_x
      - .offset:         118
        .size:           2
        .value_kind:     hidden_group_size_y
      - .offset:         120
        .size:           2
        .value_kind:     hidden_group_size_z
      - .offset:         122
        .size:           2
        .value_kind:     hidden_remainder_x
      - .offset:         124
        .size:           2
        .value_kind:     hidden_remainder_y
      - .offset:         126
        .size:           2
        .value_kind:     hidden_remainder_z
      - .offset:         144
        .size:           8
        .value_kind:     hidden_global_offset_x
      - .offset:         152
        .size:           8
        .value_kind:     hidden_global_offset_y
      - .offset:         160
        .size:           8
        .value_kind:     hidden_global_offset_z
      - .offset:         168
        .size:           2
        .value_kind:     hidden_grid_dims
    .group_segment_fixed_size: 0
    .kernarg_segment_align: 8
    .kernarg_segment_size: 360
    .language:       OpenCL C
    .language_version:
      - 2
      - 0
    .max_flat_workgroup_size: 1024
    .name:           _ZN2at6native13vol2im_kernelIN3c108BFloat16EfEEvlPKT_jjjjjjjjjjjjjjjjjjjPS4_
    .private_segment_fixed_size: 0
    .sgpr_count:     49
    .sgpr_spill_count: 0
    .symbol:         _ZN2at6native13vol2im_kernelIN3c108BFloat16EfEEvlPKT_jjjjjjjjjjjjjjjjjjjPS4_.kd
    .uniform_work_group_size: 1
    .uses_dynamic_stack: false
    .vgpr_count:     45
    .vgpr_spill_count: 0
    .wavefront_size: 32
    .workgroup_processor_mode: 1
  - .args:
      - .offset:         0
        .size:           8
        .value_kind:     by_value
      - .address_space:  global
        .offset:         8
        .size:           8
        .value_kind:     global_buffer
      - .offset:         16
        .size:           4
        .value_kind:     by_value
      - .offset:         20
        .size:           4
        .value_kind:     by_value
      - .offset:         24
        .size:           4
        .value_kind:     by_value
      - .offset:         28
        .size:           4
        .value_kind:     by_value
      - .offset:         32
        .size:           4
        .value_kind:     by_value
      - .offset:         36
        .size:           4
        .value_kind:     by_value
      - .offset:         40
        .size:           4
        .value_kind:     by_value
      - .offset:         44
        .size:           4
        .value_kind:     by_value
      - .offset:         48
        .size:           4
        .value_kind:     by_value
      - .offset:         52
        .size:           4
        .value_kind:     by_value
      - .offset:         56
        .size:           4
        .value_kind:     by_value
      - .offset:         60
        .size:           4
        .value_kind:     by_value
      - .offset:         64
        .size:           4
        .value_kind:     by_value
      - .offset:         68
        .size:           4
        .value_kind:     by_value
      - .offset:         72
        .size:           4
        .value_kind:     by_value
      - .offset:         76
        .size:           4
        .value_kind:     by_value
      - .offset:         80
        .size:           4
        .value_kind:     by_value
      - .offset:         84
        .size:           4
        .value_kind:     by_value
      - .address_space:  global
        .offset:         88
        .size:           8
        .value_kind:     global_buffer
      - .offset:         96
        .size:           4
        .value_kind:     hidden_block_count_x
      - .offset:         100
        .size:           4
        .value_kind:     hidden_block_count_y
      - .offset:         104
        .size:           4
        .value_kind:     hidden_block_count_z
      - .offset:         108
        .size:           2
        .value_kind:     hidden_group_size_x
      - .offset:         110
        .size:           2
        .value_kind:     hidden_group_size_y
      - .offset:         112
        .size:           2
        .value_kind:     hidden_group_size_z
      - .offset:         114
        .size:           2
        .value_kind:     hidden_remainder_x
      - .offset:         116
        .size:           2
        .value_kind:     hidden_remainder_y
      - .offset:         118
        .size:           2
        .value_kind:     hidden_remainder_z
      - .offset:         136
        .size:           8
        .value_kind:     hidden_global_offset_x
      - .offset:         144
        .size:           8
        .value_kind:     hidden_global_offset_y
      - .offset:         152
        .size:           8
        .value_kind:     hidden_global_offset_z
      - .offset:         160
        .size:           2
        .value_kind:     hidden_grid_dims
    .group_segment_fixed_size: 0
    .kernarg_segment_align: 8
    .kernarg_segment_size: 352
    .language:       OpenCL C
    .language_version:
      - 2
      - 0
    .max_flat_workgroup_size: 1024
    .name:           _ZN2at6native14vol2col_kernelIdEEvlPKT_iiiiiiiiiiiiiiiiiiPS2_
    .private_segment_fixed_size: 0
    .sgpr_count:     60
    .sgpr_spill_count: 0
    .symbol:         _ZN2at6native14vol2col_kernelIdEEvlPKT_iiiiiiiiiiiiiiiiiiPS2_.kd
    .uniform_work_group_size: 1
    .uses_dynamic_stack: false
    .vgpr_count:     28
    .vgpr_spill_count: 0
    .wavefront_size: 32
    .workgroup_processor_mode: 1
  - .args:
      - .offset:         0
        .size:           8
        .value_kind:     by_value
      - .address_space:  global
        .offset:         8
        .size:           8
        .value_kind:     global_buffer
      - .offset:         16
        .size:           4
        .value_kind:     by_value
      - .offset:         20
        .size:           4
        .value_kind:     by_value
      - .offset:         24
        .size:           4
        .value_kind:     by_value
      - .offset:         28
        .size:           4
        .value_kind:     by_value
      - .offset:         32
        .size:           4
        .value_kind:     by_value
      - .offset:         36
        .size:           4
        .value_kind:     by_value
      - .offset:         40
        .size:           4
        .value_kind:     by_value
      - .offset:         44
        .size:           4
        .value_kind:     by_value
      - .offset:         48
        .size:           4
        .value_kind:     by_value
      - .offset:         52
        .size:           4
        .value_kind:     by_value
      - .offset:         56
        .size:           4
        .value_kind:     by_value
      - .offset:         60
        .size:           4
        .value_kind:     by_value
      - .offset:         64
        .size:           4
        .value_kind:     by_value
      - .offset:         68
        .size:           4
        .value_kind:     by_value
      - .offset:         72
        .size:           4
        .value_kind:     by_value
      - .offset:         76
        .size:           4
        .value_kind:     by_value
      - .offset:         80
        .size:           4
        .value_kind:     by_value
      - .offset:         84
        .size:           4
        .value_kind:     by_value
      - .address_space:  global
        .offset:         88
        .size:           8
        .value_kind:     global_buffer
      - .offset:         96
        .size:           4
        .value_kind:     hidden_block_count_x
      - .offset:         100
        .size:           4
        .value_kind:     hidden_block_count_y
      - .offset:         104
        .size:           4
        .value_kind:     hidden_block_count_z
      - .offset:         108
        .size:           2
        .value_kind:     hidden_group_size_x
      - .offset:         110
        .size:           2
        .value_kind:     hidden_group_size_y
      - .offset:         112
        .size:           2
        .value_kind:     hidden_group_size_z
      - .offset:         114
        .size:           2
        .value_kind:     hidden_remainder_x
      - .offset:         116
        .size:           2
        .value_kind:     hidden_remainder_y
      - .offset:         118
        .size:           2
        .value_kind:     hidden_remainder_z
      - .offset:         136
        .size:           8
        .value_kind:     hidden_global_offset_x
      - .offset:         144
        .size:           8
        .value_kind:     hidden_global_offset_y
      - .offset:         152
        .size:           8
        .value_kind:     hidden_global_offset_z
      - .offset:         160
        .size:           2
        .value_kind:     hidden_grid_dims
    .group_segment_fixed_size: 0
    .kernarg_segment_align: 8
    .kernarg_segment_size: 352
    .language:       OpenCL C
    .language_version:
      - 2
      - 0
    .max_flat_workgroup_size: 1024
    .name:           _ZN2at6native14vol2col_kernelIfEEvlPKT_iiiiiiiiiiiiiiiiiiPS2_
    .private_segment_fixed_size: 0
    .sgpr_count:     60
    .sgpr_spill_count: 0
    .symbol:         _ZN2at6native14vol2col_kernelIfEEvlPKT_iiiiiiiiiiiiiiiiiiPS2_.kd
    .uniform_work_group_size: 1
    .uses_dynamic_stack: false
    .vgpr_count:     28
    .vgpr_spill_count: 0
    .wavefront_size: 32
    .workgroup_processor_mode: 1
  - .args:
      - .offset:         0
        .size:           8
        .value_kind:     by_value
      - .address_space:  global
        .offset:         8
        .size:           8
        .value_kind:     global_buffer
      - .offset:         16
        .size:           4
        .value_kind:     by_value
      - .offset:         20
        .size:           4
        .value_kind:     by_value
      - .offset:         24
        .size:           4
        .value_kind:     by_value
      - .offset:         28
        .size:           4
        .value_kind:     by_value
      - .offset:         32
        .size:           4
        .value_kind:     by_value
      - .offset:         36
        .size:           4
        .value_kind:     by_value
      - .offset:         40
        .size:           4
        .value_kind:     by_value
      - .offset:         44
        .size:           4
        .value_kind:     by_value
      - .offset:         48
        .size:           4
        .value_kind:     by_value
      - .offset:         52
        .size:           4
        .value_kind:     by_value
      - .offset:         56
        .size:           4
        .value_kind:     by_value
      - .offset:         60
        .size:           4
        .value_kind:     by_value
      - .offset:         64
        .size:           4
        .value_kind:     by_value
      - .offset:         68
        .size:           4
        .value_kind:     by_value
      - .offset:         72
        .size:           4
        .value_kind:     by_value
      - .offset:         76
        .size:           4
        .value_kind:     by_value
      - .offset:         80
        .size:           4
        .value_kind:     by_value
      - .offset:         84
        .size:           4
        .value_kind:     by_value
      - .address_space:  global
        .offset:         88
        .size:           8
        .value_kind:     global_buffer
      - .offset:         96
        .size:           4
        .value_kind:     hidden_block_count_x
      - .offset:         100
        .size:           4
        .value_kind:     hidden_block_count_y
      - .offset:         104
        .size:           4
        .value_kind:     hidden_block_count_z
      - .offset:         108
        .size:           2
        .value_kind:     hidden_group_size_x
      - .offset:         110
        .size:           2
        .value_kind:     hidden_group_size_y
      - .offset:         112
        .size:           2
        .value_kind:     hidden_group_size_z
      - .offset:         114
        .size:           2
        .value_kind:     hidden_remainder_x
      - .offset:         116
        .size:           2
        .value_kind:     hidden_remainder_y
      - .offset:         118
        .size:           2
        .value_kind:     hidden_remainder_z
      - .offset:         136
        .size:           8
        .value_kind:     hidden_global_offset_x
      - .offset:         144
        .size:           8
        .value_kind:     hidden_global_offset_y
      - .offset:         152
        .size:           8
        .value_kind:     hidden_global_offset_z
      - .offset:         160
        .size:           2
        .value_kind:     hidden_grid_dims
    .group_segment_fixed_size: 0
    .kernarg_segment_align: 8
    .kernarg_segment_size: 352
    .language:       OpenCL C
    .language_version:
      - 2
      - 0
    .max_flat_workgroup_size: 1024
    .name:           _ZN2at6native14vol2col_kernelIN3c104HalfEEEvlPKT_iiiiiiiiiiiiiiiiiiPS4_
    .private_segment_fixed_size: 0
    .sgpr_count:     60
    .sgpr_spill_count: 0
    .symbol:         _ZN2at6native14vol2col_kernelIN3c104HalfEEEvlPKT_iiiiiiiiiiiiiiiiiiPS4_.kd
    .uniform_work_group_size: 1
    .uses_dynamic_stack: false
    .vgpr_count:     28
    .vgpr_spill_count: 0
    .wavefront_size: 32
    .workgroup_processor_mode: 1
  - .args:
      - .offset:         0
        .size:           8
        .value_kind:     by_value
      - .address_space:  global
        .offset:         8
        .size:           8
        .value_kind:     global_buffer
      - .offset:         16
        .size:           4
        .value_kind:     by_value
      - .offset:         20
        .size:           4
        .value_kind:     by_value
      - .offset:         24
        .size:           4
        .value_kind:     by_value
      - .offset:         28
        .size:           4
        .value_kind:     by_value
      - .offset:         32
        .size:           4
        .value_kind:     by_value
      - .offset:         36
        .size:           4
        .value_kind:     by_value
      - .offset:         40
        .size:           4
        .value_kind:     by_value
      - .offset:         44
        .size:           4
        .value_kind:     by_value
      - .offset:         48
        .size:           4
        .value_kind:     by_value
      - .offset:         52
        .size:           4
        .value_kind:     by_value
      - .offset:         56
        .size:           4
        .value_kind:     by_value
      - .offset:         60
        .size:           4
        .value_kind:     by_value
      - .offset:         64
        .size:           4
        .value_kind:     by_value
      - .offset:         68
        .size:           4
        .value_kind:     by_value
      - .offset:         72
        .size:           4
        .value_kind:     by_value
      - .offset:         76
        .size:           4
        .value_kind:     by_value
      - .offset:         80
        .size:           4
        .value_kind:     by_value
      - .offset:         84
        .size:           4
        .value_kind:     by_value
      - .address_space:  global
        .offset:         88
        .size:           8
        .value_kind:     global_buffer
      - .offset:         96
        .size:           4
        .value_kind:     hidden_block_count_x
      - .offset:         100
        .size:           4
        .value_kind:     hidden_block_count_y
      - .offset:         104
        .size:           4
        .value_kind:     hidden_block_count_z
      - .offset:         108
        .size:           2
        .value_kind:     hidden_group_size_x
      - .offset:         110
        .size:           2
        .value_kind:     hidden_group_size_y
      - .offset:         112
        .size:           2
        .value_kind:     hidden_group_size_z
      - .offset:         114
        .size:           2
        .value_kind:     hidden_remainder_x
      - .offset:         116
        .size:           2
        .value_kind:     hidden_remainder_y
      - .offset:         118
        .size:           2
        .value_kind:     hidden_remainder_z
      - .offset:         136
        .size:           8
        .value_kind:     hidden_global_offset_x
      - .offset:         144
        .size:           8
        .value_kind:     hidden_global_offset_y
      - .offset:         152
        .size:           8
        .value_kind:     hidden_global_offset_z
      - .offset:         160
        .size:           2
        .value_kind:     hidden_grid_dims
    .group_segment_fixed_size: 0
    .kernarg_segment_align: 8
    .kernarg_segment_size: 352
    .language:       OpenCL C
    .language_version:
      - 2
      - 0
    .max_flat_workgroup_size: 1024
    .name:           _ZN2at6native14vol2col_kernelIN3c108BFloat16EEEvlPKT_iiiiiiiiiiiiiiiiiiPS4_
    .private_segment_fixed_size: 0
    .sgpr_count:     60
    .sgpr_spill_count: 0
    .symbol:         _ZN2at6native14vol2col_kernelIN3c108BFloat16EEEvlPKT_iiiiiiiiiiiiiiiiiiPS4_.kd
    .uniform_work_group_size: 1
    .uses_dynamic_stack: false
    .vgpr_count:     28
    .vgpr_spill_count: 0
    .wavefront_size: 32
    .workgroup_processor_mode: 1
amdhsa.target:   amdgcn-amd-amdhsa--gfx1100
amdhsa.version:
  - 1
  - 2
...

	.end_amdgpu_metadata
